;; amdgpu-corpus repo=ROCm/rocFFT kind=compiled arch=gfx1030 opt=O3
	.text
	.amdgcn_target "amdgcn-amd-amdhsa--gfx1030"
	.amdhsa_code_object_version 6
	.protected	bluestein_single_back_len2016_dim1_half_op_CI_CI ; -- Begin function bluestein_single_back_len2016_dim1_half_op_CI_CI
	.globl	bluestein_single_back_len2016_dim1_half_op_CI_CI
	.p2align	8
	.type	bluestein_single_back_len2016_dim1_half_op_CI_CI,@function
bluestein_single_back_len2016_dim1_half_op_CI_CI: ; @bluestein_single_back_len2016_dim1_half_op_CI_CI
; %bb.0:
	s_load_dwordx4 s[16:19], s[4:5], 0x28
	v_mul_u32_u24_e32 v1, 0x24a, v0
	v_mov_b32_e32 v13, 0
	s_mov_b32 s0, exec_lo
	v_lshrrev_b32_e32 v3, 16, v1
	v_lshl_add_u32 v12, s6, 1, v3
	s_waitcnt lgkmcnt(0)
	v_cmpx_gt_u64_e64 s[16:17], v[12:13]
	s_cbranch_execz .LBB0_10
; %bb.1:
	s_clause 0x1
	s_load_dwordx4 s[0:3], s[4:5], 0x18
	s_load_dwordx4 s[12:15], s[4:5], 0x0
	v_mul_lo_u16 v1, 0x70, v3
	v_sub_nc_u16 v2, v0, v1
	v_and_b32_e32 v65, 0xffff, v2
	v_or_b32_e32 v49, 0x700, v65
	v_or_b32_e32 v48, 0x380, v65
	v_lshlrev_b32_e32 v1, 2, v65
	s_waitcnt lgkmcnt(0)
	s_load_dwordx4 s[8:11], s[0:1], 0x0
	v_lshlrev_b32_e32 v71, 2, v49
	v_lshlrev_b32_e32 v70, 2, v48
	v_add_co_u32 v21, s0, s12, v1
	v_add_co_ci_u32_e64 v22, null, s13, 0, s0
	v_add_co_u32 v4, vcc_lo, 0x800, v21
	v_add_co_ci_u32_e32 v5, vcc_lo, 0, v22, vcc_lo
	s_clause 0x3
	global_load_dword v69, v1, s[12:13]
	global_load_dword v52, v71, s[12:13]
	;; [unrolled: 1-line block ×3, first 2 shown]
	global_load_dword v68, v[4:5], off offset:1984
	s_waitcnt lgkmcnt(0)
	v_mad_u64_u32 v[6:7], null, s10, v12, 0
	v_mad_u64_u32 v[8:9], null, s8, v65, 0
	;; [unrolled: 1-line block ×4, first 2 shown]
	v_mov_b32_e32 v0, v7
	s_mul_i32 s0, s9, 0xfc0
	v_mov_b32_e32 v7, v9
	s_mul_hi_u32 s1, s8, 0xfc0
	v_mov_b32_e32 v9, v11
	s_mul_i32 s6, s8, 0xfc0
	v_mov_b32_e32 v11, v14
	v_mad_u64_u32 v[14:15], null, s11, v12, v[0:1]
	v_mad_u64_u32 v[15:16], null, s9, v65, v[7:8]
	;; [unrolled: 1-line block ×4, first 2 shown]
	v_mov_b32_e32 v7, v14
	s_add_i32 s1, s1, s0
	v_mov_b32_e32 v9, v15
	s_mul_hi_u32 s10, s8, 0xfffff200
	v_mov_b32_e32 v11, v16
	v_lshlrev_b64 v[6:7], 2, v[6:7]
	v_mov_b32_e32 v14, v17
	v_lshlrev_b64 v[8:9], 2, v[8:9]
	s_mul_i32 s7, s9, 0xfffff200
	v_lshlrev_b64 v[10:11], 2, v[10:11]
	s_mul_i32 s11, s8, 0xfffff200
	v_add_co_u32 v0, vcc_lo, s18, v6
	v_add_co_ci_u32_e32 v15, vcc_lo, s19, v7, vcc_lo
	v_lshlrev_b64 v[6:7], 2, v[13:14]
	v_add_co_u32 v8, vcc_lo, v0, v8
	v_add_co_ci_u32_e32 v9, vcc_lo, v15, v9, vcc_lo
	v_add_co_u32 v10, vcc_lo, v0, v10
	v_add_co_ci_u32_e32 v11, vcc_lo, v15, v11, vcc_lo
	;; [unrolled: 2-line block ×3, first 2 shown]
	s_clause 0x1
	global_load_dword v23, v[8:9], off
	global_load_dword v24, v[10:11], off
	s_sub_i32 s0, s10, s8
	global_load_dword v25, v[6:7], off
	v_add_co_u32 v8, vcc_lo, v8, s6
	v_add_co_ci_u32_e32 v9, vcc_lo, s1, v9, vcc_lo
	s_add_i32 s0, s0, s7
	v_add_co_u32 v10, vcc_lo, v8, s11
	v_add_co_ci_u32_e32 v11, vcc_lo, s0, v9, vcc_lo
	global_load_dword v26, v[8:9], off
	v_add_co_u32 v6, vcc_lo, v10, s6
	v_add_co_ci_u32_e32 v7, vcc_lo, s1, v11, vcc_lo
	s_clause 0x1
	global_load_dword v27, v[10:11], off
	global_load_dword v28, v[6:7], off
	v_add_co_u32 v8, vcc_lo, v6, s11
	v_add_co_ci_u32_e32 v9, vcc_lo, s0, v7, vcc_lo
	v_add_co_u32 v6, vcc_lo, v8, s6
	v_add_co_ci_u32_e32 v7, vcc_lo, s1, v9, vcc_lo
	;; [unrolled: 2-line block ×3, first 2 shown]
	global_load_dword v29, v[8:9], off
	s_clause 0x1
	global_load_dword v67, v1, s[12:13] offset:448
	global_load_dword v64, v1, s[12:13] offset:896
	global_load_dword v30, v[6:7], off
	v_add_co_u32 v6, vcc_lo, v6, s11
	v_add_co_ci_u32_e32 v7, vcc_lo, s0, v7, vcc_lo
	s_clause 0x1
	global_load_dword v66, v[10:11], off offset:384
	global_load_dword v63, v[10:11], off offset:832
	v_add_co_u32 v8, vcc_lo, v6, s6
	v_add_co_ci_u32_e32 v9, vcc_lo, s1, v7, vcc_lo
	global_load_dword v31, v[6:7], off
	v_add_co_u32 v6, vcc_lo, v8, s11
	v_add_co_ci_u32_e32 v7, vcc_lo, s0, v9, vcc_lo
	global_load_dword v32, v[8:9], off
	;; [unrolled: 3-line block ×3, first 2 shown]
	v_add_co_u32 v8, vcc_lo, v13, s11
	v_add_co_ci_u32_e32 v9, vcc_lo, s0, v14, vcc_lo
	s_clause 0x1
	global_load_dword v62, v1, s[12:13] offset:1344
	global_load_dword v60, v1, s[12:13] offset:1792
	v_add_co_u32 v15, vcc_lo, v8, s6
	v_add_co_ci_u32_e32 v16, vcc_lo, s1, v9, vcc_lo
	global_load_dword v61, v[10:11], off offset:1280
	v_add_co_u32 v6, vcc_lo, v15, s11
	v_add_co_ci_u32_e32 v7, vcc_lo, s0, v16, vcc_lo
	global_load_dword v13, v[13:14], off
	global_load_dword v59, v[10:11], off offset:1728
	global_load_dword v34, v[8:9], off
	v_add_co_u32 v17, vcc_lo, v6, s6
	v_add_co_ci_u32_e32 v18, vcc_lo, s1, v7, vcc_lo
	global_load_dword v58, v[4:5], off offset:192
	v_add_co_u32 v19, vcc_lo, v17, s11
	v_add_co_ci_u32_e32 v20, vcc_lo, s0, v18, vcc_lo
	v_add_co_u32 v10, vcc_lo, 0x1800, v21
	v_add_co_ci_u32_e32 v11, vcc_lo, 0, v22, vcc_lo
	v_mad_u64_u32 v[8:9], null, 0x1180, s8, v[19:20]
	global_load_dword v21, v[15:16], off
	global_load_dword v57, v[10:11], off offset:128
	global_load_dword v22, v[6:7], off
	global_load_dword v56, v[4:5], off offset:640
	global_load_dword v35, v[17:18], off
	v_and_b32_e32 v14, 1, v65
	v_add_co_u32 v15, null, 0x70, v65
	v_add_co_u32 v17, null, 0x150, v65
	v_mov_b32_e32 v0, v9
	v_add_co_u32 v16, null, 0x1c0, v65
	v_add_co_u32 v18, null, 0x230, v65
	v_mad_u64_u32 v[6:7], null, 0x1180, s9, v[0:1]
	v_and_b32_e32 v0, 1, v3
	v_add_co_u32 v3, null, 0xe0, v65
	v_lshlrev_b32_e32 v46, 2, v14
	v_cmp_eq_u32_e32 vcc_lo, 1, v0
	v_mov_b32_e32 v9, v6
	global_load_dword v54, v[10:11], off offset:576
	global_load_dword v19, v[19:20], off
	global_load_dword v20, v[8:9], off
	s_clause 0x1
	global_load_dword v53, v[4:5], off offset:1088
	global_load_dword v50, v[10:11], off offset:1472
	v_cndmask_b32_e64 v0, 0, 0x7e0, vcc_lo
	s_load_dwordx4 s[8:11], s[2:3], 0x0
	v_cmp_gt_u16_e32 vcc_lo, 0x60, v2
	s_load_dwordx2 s[2:3], s[4:5], 0x38
	v_lshlrev_b32_e32 v82, 2, v0
	v_lshlrev_b32_e32 v0, 1, v65
	v_add_nc_u32_e32 v55, v82, v1
	v_lshl_add_u32 v72, v65, 3, v82
	v_lshl_add_u32 v75, v15, 3, v82
	;; [unrolled: 1-line block ×4, first 2 shown]
	v_add_nc_u32_e32 v4, 0x1000, v55
	v_add_nc_u32_e32 v7, 0x200, v55
	;; [unrolled: 1-line block ×8, first 2 shown]
	v_lshl_add_u32 v77, v16, 3, v82
	v_lshl_add_u32 v78, v18, 3, v82
	v_lshl_add_u32 v76, v48, 3, v82
	s_waitcnt vmcnt(31)
	v_lshrrev_b32_e32 v1, 16, v23
	v_mul_f16_sdwa v36, v69, v23 dst_sel:DWORD dst_unused:UNUSED_PAD src0_sel:WORD_1 src1_sel:DWORD
	s_waitcnt vmcnt(30)
	v_lshrrev_b32_e32 v37, 16, v24
	v_mul_f16_sdwa v38, v52, v24 dst_sel:DWORD dst_unused:UNUSED_PAD src0_sel:WORD_1 src1_sel:DWORD
	;; [unrolled: 3-line block ×3, first 2 shown]
	v_mul_f16_sdwa v41, v69, v1 dst_sel:DWORD dst_unused:UNUSED_PAD src0_sel:WORD_1 src1_sel:DWORD
	v_fma_f16 v1, v69, v1, -v36
	v_fma_f16 v38, v52, v37, -v38
	v_mul_f16_sdwa v37, v52, v37 dst_sel:DWORD dst_unused:UNUSED_PAD src0_sel:WORD_1 src1_sel:DWORD
	v_fma_f16 v40, v51, v39, -v40
	v_mul_f16_sdwa v39, v51, v39 dst_sel:DWORD dst_unused:UNUSED_PAD src0_sel:WORD_1 src1_sel:DWORD
	v_fmac_f16_e32 v41, v69, v23
	s_waitcnt vmcnt(28)
	v_lshrrev_b32_e32 v36, 16, v26
	v_mul_f16_sdwa v42, v68, v26 dst_sel:DWORD dst_unused:UNUSED_PAD src0_sel:WORD_1 src1_sel:DWORD
	v_fmac_f16_e32 v37, v52, v24
	v_fmac_f16_e32 v39, v51, v25
	v_pack_b32_f16 v1, v41, v1
	v_fma_f16 v23, v68, v36, -v42
	v_mul_f16_sdwa v36, v68, v36 dst_sel:DWORD dst_unused:UNUSED_PAD src0_sel:WORD_1 src1_sel:DWORD
	s_waitcnt vmcnt(27)
	v_lshrrev_b32_e32 v24, 16, v27
	v_pack_b32_f16 v37, v37, v38
	v_pack_b32_f16 v39, v39, v40
	v_fmac_f16_e32 v36, v68, v26
	s_waitcnt vmcnt(26)
	v_lshrrev_b32_e32 v26, 16, v28
	v_pack_b32_f16 v23, v36, v23
	s_waitcnt vmcnt(25)
	v_lshrrev_b32_e32 v36, 16, v29
	s_waitcnt vmcnt(24)
	v_mul_f16_sdwa v42, v67, v27 dst_sel:DWORD dst_unused:UNUSED_PAD src0_sel:WORD_1 src1_sel:DWORD
	v_mul_f16_sdwa v25, v67, v24 dst_sel:DWORD dst_unused:UNUSED_PAD src0_sel:WORD_1 src1_sel:DWORD
	ds_write_b32 v55, v23 offset:4032
	v_fma_f16 v24, v67, v24, -v42
	s_waitcnt vmcnt(21)
	v_mul_f16_sdwa v38, v66, v28 dst_sel:DWORD dst_unused:UNUSED_PAD src0_sel:WORD_1 src1_sel:DWORD
	v_fmac_f16_e32 v25, v67, v27
	v_mul_f16_sdwa v27, v66, v26 dst_sel:DWORD dst_unused:UNUSED_PAD src0_sel:WORD_1 src1_sel:DWORD
	v_fma_f16 v26, v66, v26, -v38
	v_mul_f16_sdwa v38, v64, v29 dst_sel:DWORD dst_unused:UNUSED_PAD src0_sel:WORD_1 src1_sel:DWORD
	v_pack_b32_f16 v23, v25, v24
	v_fmac_f16_e32 v27, v66, v28
	v_mul_f16_sdwa v24, v64, v36 dst_sel:DWORD dst_unused:UNUSED_PAD src0_sel:WORD_1 src1_sel:DWORD
	v_lshrrev_b32_e32 v28, 16, v30
	v_fma_f16 v25, v64, v36, -v38
	s_waitcnt vmcnt(20)
	v_mul_f16_sdwa v36, v63, v30 dst_sel:DWORD dst_unused:UNUSED_PAD src0_sel:WORD_1 src1_sel:DWORD
	ds_write2_b32 v55, v1, v23 offset1:112
	v_pack_b32_f16 v1, v27, v26
	v_fmac_f16_e32 v24, v64, v29
	v_mul_f16_sdwa v23, v63, v28 dst_sel:DWORD dst_unused:UNUSED_PAD src0_sel:WORD_1 src1_sel:DWORD
	s_waitcnt vmcnt(19)
	v_lshrrev_b32_e32 v27, 16, v31
	v_fma_f16 v26, v63, v28, -v36
	s_waitcnt vmcnt(18)
	v_lshrrev_b32_e32 v29, 16, v32
	v_pack_b32_f16 v24, v24, v25
	s_waitcnt vmcnt(16)
	v_mul_f16_sdwa v28, v62, v31 dst_sel:DWORD dst_unused:UNUSED_PAD src0_sel:WORD_1 src1_sel:DWORD
	v_fmac_f16_e32 v23, v63, v30
	v_mul_f16_sdwa v25, v62, v27 dst_sel:DWORD dst_unused:UNUSED_PAD src0_sel:WORD_1 src1_sel:DWORD
	ds_write_b32 v55, v39 offset:3584
	v_fma_f16 v27, v62, v27, -v28
	s_waitcnt vmcnt(14)
	v_mul_f16_sdwa v30, v61, v32 dst_sel:DWORD dst_unused:UNUSED_PAD src0_sel:WORD_1 src1_sel:DWORD
	v_pack_b32_f16 v23, v23, v26
	v_fmac_f16_e32 v25, v62, v31
	v_mul_f16_sdwa v26, v61, v29 dst_sel:DWORD dst_unused:UNUSED_PAD src0_sel:WORD_1 src1_sel:DWORD
	v_fma_f16 v28, v61, v29, -v30
	v_lshrrev_b32_e32 v29, 16, v33
	v_mul_f16_sdwa v30, v60, v33 dst_sel:DWORD dst_unused:UNUSED_PAD src0_sel:WORD_1 src1_sel:DWORD
	ds_write2_b32 v4, v1, v23 offset0:96 offset1:208
	v_pack_b32_f16 v1, v25, v27
	v_fmac_f16_e32 v26, v61, v32
	s_waitcnt vmcnt(13)
	v_lshrrev_b32_e32 v27, 16, v13
	v_mul_f16_sdwa v23, v60, v29 dst_sel:DWORD dst_unused:UNUSED_PAD src0_sel:WORD_1 src1_sel:DWORD
	v_fma_f16 v25, v60, v29, -v30
	s_waitcnt vmcnt(12)
	v_mul_f16_sdwa v29, v59, v13 dst_sel:DWORD dst_unused:UNUSED_PAD src0_sel:WORD_1 src1_sel:DWORD
	ds_write2_b32 v7, v24, v1 offset0:96 offset1:208
	v_pack_b32_f16 v1, v26, v28
	v_mul_f16_sdwa v24, v59, v27 dst_sel:DWORD dst_unused:UNUSED_PAD src0_sel:WORD_1 src1_sel:DWORD
	s_waitcnt vmcnt(11)
	v_lshrrev_b32_e32 v26, 16, v34
	v_fmac_f16_e32 v23, v60, v33
	s_waitcnt vmcnt(10)
	v_mul_f16_sdwa v28, v58, v34 dst_sel:DWORD dst_unused:UNUSED_PAD src0_sel:WORD_1 src1_sel:DWORD
	v_fma_f16 v27, v59, v27, -v29
	v_fmac_f16_e32 v24, v59, v13
	v_mul_f16_sdwa v13, v58, v26 dst_sel:DWORD dst_unused:UNUSED_PAD src0_sel:WORD_1 src1_sel:DWORD
	v_pack_b32_f16 v23, v23, v25
	v_fma_f16 v25, v58, v26, -v28
	s_waitcnt vmcnt(9)
	v_lshrrev_b32_e32 v26, 16, v21
	s_waitcnt vmcnt(8)
	v_mul_f16_sdwa v28, v57, v21 dst_sel:DWORD dst_unused:UNUSED_PAD src0_sel:WORD_1 src1_sel:DWORD
	v_pack_b32_f16 v24, v24, v27
	v_fmac_f16_e32 v13, v58, v34
	s_waitcnt vmcnt(7)
	v_lshrrev_b32_e32 v27, 16, v22
	v_mul_f16_sdwa v29, v57, v26 dst_sel:DWORD dst_unused:UNUSED_PAD src0_sel:WORD_1 src1_sel:DWORD
	v_fma_f16 v26, v57, v26, -v28
	s_waitcnt vmcnt(6)
	v_mul_f16_sdwa v28, v56, v22 dst_sel:DWORD dst_unused:UNUSED_PAD src0_sel:WORD_1 src1_sel:DWORD
	v_pack_b32_f16 v13, v13, v25
	v_mul_f16_sdwa v25, v56, v27 dst_sel:DWORD dst_unused:UNUSED_PAD src0_sel:WORD_1 src1_sel:DWORD
	v_fmac_f16_e32 v29, v57, v21
	s_waitcnt vmcnt(5)
	v_lshrrev_b32_e32 v21, 16, v35
	v_fma_f16 v27, v56, v27, -v28
	s_waitcnt vmcnt(4)
	v_mul_f16_sdwa v28, v54, v35 dst_sel:DWORD dst_unused:UNUSED_PAD src0_sel:WORD_1 src1_sel:DWORD
	v_fmac_f16_e32 v25, v56, v22
	s_waitcnt vmcnt(3)
	v_lshrrev_b32_e32 v22, 16, v19
	s_waitcnt vmcnt(2)
	v_lshrrev_b32_e32 v31, 16, v20
	v_mul_f16_sdwa v30, v54, v21 dst_sel:DWORD dst_unused:UNUSED_PAD src0_sel:WORD_1 src1_sel:DWORD
	v_fma_f16 v21, v54, v21, -v28
	s_waitcnt vmcnt(1)
	v_mul_f16_sdwa v28, v53, v19 dst_sel:DWORD dst_unused:UNUSED_PAD src0_sel:WORD_1 src1_sel:DWORD
	v_mul_f16_sdwa v32, v53, v22 dst_sel:DWORD dst_unused:UNUSED_PAD src0_sel:WORD_1 src1_sel:DWORD
	s_waitcnt vmcnt(0)
	v_mul_f16_sdwa v33, v50, v20 dst_sel:DWORD dst_unused:UNUSED_PAD src0_sel:WORD_1 src1_sel:DWORD
	v_mul_f16_sdwa v34, v50, v31 dst_sel:DWORD dst_unused:UNUSED_PAD src0_sel:WORD_1 src1_sel:DWORD
	v_fmac_f16_e32 v30, v54, v35
	v_fma_f16 v22, v53, v22, -v28
	v_fmac_f16_e32 v32, v53, v19
	v_fma_f16 v19, v50, v31, -v33
	v_fmac_f16_e32 v34, v50, v20
	v_pack_b32_f16 v20, v29, v26
	v_pack_b32_f16 v21, v30, v21
	;; [unrolled: 1-line block ×5, first 2 shown]
	ds_write2_b32 v10, v1, v24 offset0:64 offset1:176
	ds_write2_b32 v6, v23, v13 offset0:64 offset1:176
	;; [unrolled: 1-line block ×4, first 2 shown]
	ds_write2_b32 v8, v37, v19 offset1:112
	s_waitcnt lgkmcnt(0)
	s_barrier
	buffer_gl0_inv
	ds_read2_b32 v[19:20], v55 offset1:112
	ds_read2_b32 v[21:22], v5 offset0:128 offset1:240
	ds_read2_b32 v[23:24], v4 offset0:96 offset1:208
	;; [unrolled: 1-line block ×7, first 2 shown]
	ds_read2_b32 v[35:36], v8 offset1:112
	v_add_nc_u32_e32 v1, 0x540, v0
	v_add_nc_u32_e32 v13, 0x620, v0
	s_waitcnt lgkmcnt(0)
	s_barrier
	buffer_gl0_inv
	v_lshl_add_u32 v81, v1, 2, v82
	v_lshl_add_u32 v80, v13, 2, v82
	v_pk_add_f16 v37, v19, v22 neg_lo:[0,1] neg_hi:[0,1]
	v_pk_add_f16 v23, v20, v23 neg_lo:[0,1] neg_hi:[0,1]
	;; [unrolled: 1-line block ×9, first 2 shown]
	v_pk_fma_f16 v36, v19, 2.0, v37 op_sel_hi:[1,0,1] neg_lo:[0,0,1] neg_hi:[0,0,1]
	v_pk_fma_f16 v22, v20, 2.0, v23 op_sel_hi:[1,0,1] neg_lo:[0,0,1] neg_hi:[0,0,1]
	;; [unrolled: 1-line block ×9, first 2 shown]
	ds_write_b64 v72, v[36:37]
	ds_write_b64 v75, v[22:23]
	ds_write_b64 v74, v[38:39]
	ds_write_b64 v79, v[26:27]
	ds_write_b64 v77, v[40:41]
	ds_write_b64 v78, v[30:31]
	ds_write_b64 v81, v[42:43]
	ds_write_b64 v80, v[34:35]
	ds_write_b64 v76, v[44:45]
	s_waitcnt lgkmcnt(0)
	s_barrier
	buffer_gl0_inv
	global_load_dword v73, v46, s[14:15]
	v_lshlrev_b32_e32 v20, 1, v15
	v_lshlrev_b32_e32 v21, 1, v3
	;; [unrolled: 1-line block ×5, first 2 shown]
	v_and_or_b32 v25, 0xfc, v0, v14
	v_and_or_b32 v31, 0x1fc, v20, v14
	;; [unrolled: 1-line block ×7, first 2 shown]
	v_lshl_add_u32 v84, v25, 2, v82
	ds_read2_b32 v[25:26], v5 offset0:128 offset1:240
	ds_read2_b32 v[27:28], v55 offset1:112
	ds_read2_b32 v[29:30], v4 offset0:96 offset1:208
	v_lshl_add_u32 v85, v31, 2, v82
	v_lshl_add_u32 v86, v32, 2, v82
	ds_read2_b32 v[31:32], v7 offset0:96 offset1:208
	ds_read2_b32 v[33:34], v10 offset0:64 offset1:176
	v_lshl_add_u32 v87, v35, 2, v82
	v_lshl_add_u32 v88, v36, 2, v82
	ds_read2_b32 v[35:36], v6 offset0:64 offset1:176
	;; [unrolled: 4-line block ×3, first 2 shown]
	ds_read2_b32 v[41:42], v8 offset1:112
	v_lshlrev_b32_e32 v19, 1, v48
	v_and_or_b32 v45, 0x7fc, v13, v14
	v_and_b32_e32 v43, 3, v65
	s_waitcnt vmcnt(0) lgkmcnt(0)
	s_barrier
	v_and_or_b32 v14, 0x7fc, v19, v14
	v_lshl_add_u32 v91, v45, 2, v82
	v_lshlrev_b32_e32 v44, 2, v43
	v_lshrrev_b32_e32 v105, 16, v25
	v_lshrrev_b32_e32 v45, 16, v27
	v_lshl_add_u32 v92, v14, 2, v82
	v_lshrrev_b32_e32 v14, 16, v26
	v_lshrrev_b32_e32 v46, 16, v29
	;; [unrolled: 1-line block ×16, first 2 shown]
	buffer_gl0_inv
	v_mul_f16_sdwa v106, v26, v73 dst_sel:DWORD dst_unused:UNUSED_PAD src0_sel:DWORD src1_sel:WORD_1
	v_mul_f16_sdwa v107, v14, v73 dst_sel:DWORD dst_unused:UNUSED_PAD src0_sel:DWORD src1_sel:WORD_1
	;; [unrolled: 1-line block ×18, first 2 shown]
	v_fmac_f16_e32 v106, v14, v73
	v_fma_f16 v14, v26, v73, -v107
	v_fmac_f16_e32 v108, v46, v73
	v_fma_f16 v26, v29, v73, -v109
	v_fma_f16 v29, v30, v73, -v110
	v_fmac_f16_e32 v111, v83, v73
	v_fmac_f16_e32 v112, v94, v73
	v_fma_f16 v30, v33, v73, -v113
	v_fma_f16 v33, v34, v73, -v114
	v_fmac_f16_e32 v115, v96, v73
	v_fmac_f16_e32 v116, v98, v73
	v_fma_f16 v34, v37, v73, -v117
	v_fma_f16 v37, v38, v73, -v118
	v_fmac_f16_e32 v119, v100, v73
	v_fmac_f16_e32 v120, v102, v73
	v_fma_f16 v38, v41, v73, -v121
	v_fma_f16 v41, v42, v73, -v122
	v_fmac_f16_e32 v123, v104, v73
	v_sub_f16_e32 v42, v45, v106
	v_sub_f16_e32 v14, v27, v14
	;; [unrolled: 1-line block ×18, first 2 shown]
	v_fma_f16 v45, v45, 2.0, -v42
	v_pack_b32_f16 v42, v14, v42
	v_fma_f16 v14, v27, 2.0, -v14
	v_fma_f16 v27, v28, 2.0, -v26
	;; [unrolled: 1-line block ×3, first 2 shown]
	v_pack_b32_f16 v26, v26, v46
	v_fma_f16 v46, v93, 2.0, -v83
	v_pack_b32_f16 v47, v29, v83
	v_fma_f16 v29, v31, 2.0, -v29
	v_fma_f16 v31, v32, 2.0, -v30
	;; [unrolled: 1-line block ×4, first 2 shown]
	v_pack_b32_f16 v93, v33, v96
	v_fma_f16 v33, v35, 2.0, -v33
	v_pack_b32_f16 v30, v30, v94
	v_fma_f16 v35, v36, 2.0, -v34
	v_fma_f16 v36, v99, 2.0, -v98
	;; [unrolled: 1-line block ×3, first 2 shown]
	v_pack_b32_f16 v95, v37, v100
	v_fma_f16 v37, v39, 2.0, -v37
	v_fma_f16 v39, v40, 2.0, -v38
	v_fma_f16 v40, v103, 2.0, -v102
	v_fma_f16 v25, v25, 2.0, -v41
	v_fma_f16 v96, v105, 2.0, -v104
	v_pack_b32_f16 v14, v14, v45
	v_pack_b32_f16 v27, v27, v28
	;; [unrolled: 1-line block ×12, first 2 shown]
	ds_write2_b32 v84, v14, v42 offset1:2
	ds_write2_b32 v85, v27, v26 offset1:2
	;; [unrolled: 1-line block ×9, first 2 shown]
	s_waitcnt lgkmcnt(0)
	s_barrier
	buffer_gl0_inv
	global_load_dword v83, v44, s[14:15] offset:8
	v_and_or_b32 v25, 0xf8, v0, v43
	v_and_or_b32 v31, 0x1f8, v20, v43
	;; [unrolled: 1-line block ×7, first 2 shown]
	v_lshl_add_u32 v93, v25, 2, v82
	ds_read2_b32 v[25:26], v5 offset0:128 offset1:240
	ds_read2_b32 v[27:28], v55 offset1:112
	ds_read2_b32 v[29:30], v4 offset0:96 offset1:208
	v_lshl_add_u32 v94, v31, 2, v82
	v_lshl_add_u32 v95, v32, 2, v82
	ds_read2_b32 v[31:32], v7 offset0:96 offset1:208
	ds_read2_b32 v[33:34], v10 offset0:64 offset1:176
	v_lshl_add_u32 v96, v35, 2, v82
	v_lshl_add_u32 v97, v36, 2, v82
	ds_read2_b32 v[35:36], v6 offset0:64 offset1:176
	;; [unrolled: 4-line block ×3, first 2 shown]
	ds_read2_b32 v[41:42], v8 offset1:112
	v_and_or_b32 v45, 0x7f8, v13, v43
	v_and_or_b32 v43, 0x7f8, v19, v43
	v_and_b32_e32 v14, 7, v65
	s_waitcnt vmcnt(0) lgkmcnt(0)
	s_barrier
	v_lshl_add_u32 v101, v45, 2, v82
	v_lshl_add_u32 v102, v43, 2, v82
	v_lshlrev_b32_e32 v44, 2, v14
	v_lshrrev_b32_e32 v43, 16, v26
	v_lshrrev_b32_e32 v45, 16, v27
	v_lshrrev_b32_e32 v46, 16, v29
	v_lshrrev_b32_e32 v100, 16, v30
	v_lshrrev_b32_e32 v47, 16, v28
	v_lshrrev_b32_e32 v104, 16, v33
	v_lshrrev_b32_e32 v106, 16, v34
	v_lshrrev_b32_e32 v103, 16, v31
	v_lshrrev_b32_e32 v108, 16, v37
	v_lshrrev_b32_e32 v110, 16, v38
	v_lshrrev_b32_e32 v105, 16, v32
	v_lshrrev_b32_e32 v112, 16, v41
	v_lshrrev_b32_e32 v114, 16, v42
	v_lshrrev_b32_e32 v107, 16, v35
	v_lshrrev_b32_e32 v109, 16, v36
	v_lshrrev_b32_e32 v111, 16, v39
	v_lshrrev_b32_e32 v113, 16, v40
	v_lshrrev_b32_e32 v115, 16, v25
	buffer_gl0_inv
	v_mul_f16_sdwa v116, v26, v83 dst_sel:DWORD dst_unused:UNUSED_PAD src0_sel:DWORD src1_sel:WORD_1
	v_mul_f16_sdwa v117, v43, v83 dst_sel:DWORD dst_unused:UNUSED_PAD src0_sel:DWORD src1_sel:WORD_1
	;; [unrolled: 1-line block ×18, first 2 shown]
	v_fmac_f16_e32 v116, v43, v83
	v_fma_f16 v26, v26, v83, -v117
	v_fmac_f16_e32 v118, v46, v83
	v_fma_f16 v29, v29, v83, -v119
	v_fma_f16 v30, v30, v83, -v120
	v_fmac_f16_e32 v121, v100, v83
	v_fmac_f16_e32 v122, v104, v83
	v_fma_f16 v33, v33, v83, -v123
	v_fma_f16 v34, v34, v83, -v124
	v_fmac_f16_e32 v125, v106, v83
	;; [unrolled: 4-line block ×4, first 2 shown]
	v_sub_f16_e32 v43, v45, v116
	v_sub_f16_e32 v26, v27, v26
	;; [unrolled: 1-line block ×18, first 2 shown]
	v_fma_f16 v45, v45, 2.0, -v43
	v_pack_b32_f16 v43, v26, v43
	v_fma_f16 v26, v27, 2.0, -v26
	v_fma_f16 v27, v28, 2.0, -v29
	;; [unrolled: 1-line block ×3, first 2 shown]
	v_pack_b32_f16 v29, v29, v46
	v_fma_f16 v46, v103, 2.0, -v100
	v_pack_b32_f16 v47, v30, v100
	v_fma_f16 v30, v31, 2.0, -v30
	v_fma_f16 v31, v32, 2.0, -v33
	;; [unrolled: 1-line block ×4, first 2 shown]
	v_pack_b32_f16 v103, v34, v106
	v_fma_f16 v34, v35, 2.0, -v34
	v_pack_b32_f16 v33, v33, v104
	v_fma_f16 v35, v36, 2.0, -v37
	v_fma_f16 v36, v109, 2.0, -v108
	;; [unrolled: 1-line block ×3, first 2 shown]
	v_pack_b32_f16 v105, v38, v110
	v_fma_f16 v38, v39, 2.0, -v38
	v_fma_f16 v39, v40, 2.0, -v41
	;; [unrolled: 1-line block ×5, first 2 shown]
	v_pack_b32_f16 v26, v26, v45
	v_pack_b32_f16 v27, v27, v28
	v_pack_b32_f16 v28, v30, v46
	v_pack_b32_f16 v30, v31, v32
	v_pack_b32_f16 v31, v34, v100
	v_pack_b32_f16 v37, v37, v108
	v_pack_b32_f16 v41, v41, v112
	v_pack_b32_f16 v42, v42, v114
	v_pack_b32_f16 v32, v35, v36
	v_pack_b32_f16 v34, v38, v104
	v_pack_b32_f16 v35, v39, v40
	v_pack_b32_f16 v25, v25, v106
	ds_write2_b32 v93, v26, v43 offset1:4
	ds_write2_b32 v94, v27, v29 offset1:4
	;; [unrolled: 1-line block ×9, first 2 shown]
	s_waitcnt lgkmcnt(0)
	s_barrier
	buffer_gl0_inv
	global_load_dword v100, v44, s[14:15] offset:24
	v_and_or_b32 v25, 0xf0, v0, v14
	v_and_or_b32 v31, 0x1f0, v20, v14
	;; [unrolled: 1-line block ×7, first 2 shown]
	v_lshl_add_u32 v104, v25, 2, v82
	ds_read2_b32 v[25:26], v5 offset0:128 offset1:240
	ds_read2_b32 v[27:28], v55 offset1:112
	ds_read2_b32 v[29:30], v4 offset0:96 offset1:208
	v_lshl_add_u32 v110, v31, 2, v82
	v_lshl_add_u32 v111, v32, 2, v82
	ds_read2_b32 v[31:32], v7 offset0:96 offset1:208
	ds_read2_b32 v[33:34], v10 offset0:64 offset1:176
	v_lshl_add_u32 v112, v35, 2, v82
	v_lshl_add_u32 v103, v36, 2, v82
	ds_read2_b32 v[35:36], v6 offset0:64 offset1:176
	;; [unrolled: 4-line block ×3, first 2 shown]
	ds_read2_b32 v[41:42], v8 offset1:112
	v_and_or_b32 v45, 0x7f0, v13, v14
	v_and_or_b32 v14, 0x7f0, v19, v14
	v_and_b32_e32 v43, 15, v65
	s_waitcnt vmcnt(0) lgkmcnt(0)
	s_barrier
	v_lshl_add_u32 v108, v45, 2, v82
	v_lshl_add_u32 v109, v14, 2, v82
	v_lshlrev_b32_e32 v44, 2, v43
	v_lshrrev_b32_e32 v14, 16, v26
	v_lshrrev_b32_e32 v45, 16, v27
	v_lshrrev_b32_e32 v46, 16, v29
	v_lshrrev_b32_e32 v107, 16, v30
	v_lshrrev_b32_e32 v47, 16, v28
	v_lshrrev_b32_e32 v114, 16, v33
	v_lshrrev_b32_e32 v116, 16, v34
	v_lshrrev_b32_e32 v113, 16, v31
	v_lshrrev_b32_e32 v118, 16, v37
	v_lshrrev_b32_e32 v120, 16, v38
	v_lshrrev_b32_e32 v115, 16, v32
	v_lshrrev_b32_e32 v122, 16, v41
	v_lshrrev_b32_e32 v124, 16, v42
	v_lshrrev_b32_e32 v117, 16, v35
	v_lshrrev_b32_e32 v119, 16, v36
	v_lshrrev_b32_e32 v121, 16, v39
	v_lshrrev_b32_e32 v123, 16, v40
	v_lshrrev_b32_e32 v125, 16, v25
	buffer_gl0_inv
	v_and_or_b32 v0, 0xe0, v0, v43
	v_and_or_b32 v21, 0x3e0, v21, v43
	v_mul_f16_sdwa v126, v26, v100 dst_sel:DWORD dst_unused:UNUSED_PAD src0_sel:DWORD src1_sel:WORD_1
	v_mul_f16_sdwa v127, v14, v100 dst_sel:DWORD dst_unused:UNUSED_PAD src0_sel:DWORD src1_sel:WORD_1
	v_mul_f16_sdwa v128, v29, v100 dst_sel:DWORD dst_unused:UNUSED_PAD src0_sel:DWORD src1_sel:WORD_1
	v_mul_f16_sdwa v129, v46, v100 dst_sel:DWORD dst_unused:UNUSED_PAD src0_sel:DWORD src1_sel:WORD_1
	v_mul_f16_sdwa v130, v107, v100 dst_sel:DWORD dst_unused:UNUSED_PAD src0_sel:DWORD src1_sel:WORD_1
	v_mul_f16_sdwa v131, v30, v100 dst_sel:DWORD dst_unused:UNUSED_PAD src0_sel:DWORD src1_sel:WORD_1
	v_mul_f16_sdwa v132, v33, v100 dst_sel:DWORD dst_unused:UNUSED_PAD src0_sel:DWORD src1_sel:WORD_1
	v_mul_f16_sdwa v133, v114, v100 dst_sel:DWORD dst_unused:UNUSED_PAD src0_sel:DWORD src1_sel:WORD_1
	v_mul_f16_sdwa v134, v116, v100 dst_sel:DWORD dst_unused:UNUSED_PAD src0_sel:DWORD src1_sel:WORD_1
	v_mul_f16_sdwa v135, v34, v100 dst_sel:DWORD dst_unused:UNUSED_PAD src0_sel:DWORD src1_sel:WORD_1
	v_mul_f16_sdwa v136, v37, v100 dst_sel:DWORD dst_unused:UNUSED_PAD src0_sel:DWORD src1_sel:WORD_1
	v_mul_f16_sdwa v137, v118, v100 dst_sel:DWORD dst_unused:UNUSED_PAD src0_sel:DWORD src1_sel:WORD_1
	v_mul_f16_sdwa v138, v120, v100 dst_sel:DWORD dst_unused:UNUSED_PAD src0_sel:DWORD src1_sel:WORD_1
	v_mul_f16_sdwa v139, v38, v100 dst_sel:DWORD dst_unused:UNUSED_PAD src0_sel:DWORD src1_sel:WORD_1
	v_mul_f16_sdwa v140, v41, v100 dst_sel:DWORD dst_unused:UNUSED_PAD src0_sel:DWORD src1_sel:WORD_1
	v_mul_f16_sdwa v141, v122, v100 dst_sel:DWORD dst_unused:UNUSED_PAD src0_sel:DWORD src1_sel:WORD_1
	v_mul_f16_sdwa v142, v124, v100 dst_sel:DWORD dst_unused:UNUSED_PAD src0_sel:DWORD src1_sel:WORD_1
	v_mul_f16_sdwa v143, v42, v100 dst_sel:DWORD dst_unused:UNUSED_PAD src0_sel:DWORD src1_sel:WORD_1
	v_fmac_f16_e32 v126, v14, v100
	v_fma_f16 v14, v26, v100, -v127
	v_fmac_f16_e32 v128, v46, v100
	v_fma_f16 v26, v29, v100, -v129
	v_fma_f16 v29, v30, v100, -v130
	v_fmac_f16_e32 v131, v107, v100
	v_fmac_f16_e32 v132, v114, v100
	v_fma_f16 v30, v33, v100, -v133
	v_fma_f16 v33, v34, v100, -v134
	v_fmac_f16_e32 v135, v116, v100
	;; [unrolled: 4-line block ×4, first 2 shown]
	v_sub_f16_e32 v42, v45, v126
	v_sub_f16_e32 v14, v27, v14
	;; [unrolled: 1-line block ×18, first 2 shown]
	v_fma_f16 v45, v45, 2.0, -v42
	v_pack_b32_f16 v42, v14, v42
	v_fma_f16 v14, v27, 2.0, -v14
	v_fma_f16 v27, v28, 2.0, -v26
	;; [unrolled: 1-line block ×3, first 2 shown]
	v_pack_b32_f16 v26, v26, v46
	v_fma_f16 v46, v113, 2.0, -v107
	v_pack_b32_f16 v47, v29, v107
	v_fma_f16 v29, v31, 2.0, -v29
	v_fma_f16 v31, v32, 2.0, -v30
	;; [unrolled: 1-line block ×4, first 2 shown]
	v_pack_b32_f16 v113, v33, v116
	v_fma_f16 v33, v35, 2.0, -v33
	v_pack_b32_f16 v30, v30, v114
	v_fma_f16 v35, v36, 2.0, -v34
	v_fma_f16 v36, v119, 2.0, -v118
	;; [unrolled: 1-line block ×3, first 2 shown]
	v_pack_b32_f16 v115, v37, v120
	v_fma_f16 v37, v39, 2.0, -v37
	v_fma_f16 v39, v40, 2.0, -v38
	v_fma_f16 v40, v123, 2.0, -v122
	v_fma_f16 v25, v25, 2.0, -v41
	v_fma_f16 v116, v125, 2.0, -v124
	v_pack_b32_f16 v14, v14, v45
	v_pack_b32_f16 v27, v27, v28
	;; [unrolled: 1-line block ×12, first 2 shown]
	ds_write2_b32 v104, v14, v42 offset1:8
	ds_write2_b32 v110, v27, v26 offset1:8
	;; [unrolled: 1-line block ×9, first 2 shown]
	s_waitcnt lgkmcnt(0)
	s_barrier
	buffer_gl0_inv
	global_load_dword v107, v44, s[14:15] offset:56
	v_and_or_b32 v26, 0x1e0, v20, v43
	v_and_or_b32 v27, 0x3e0, v22, v43
	;; [unrolled: 1-line block ×5, first 2 shown]
	v_lshl_add_u32 v116, v0, 2, v82
	v_and_or_b32 v37, 0x7e0, v13, v43
	v_and_or_b32 v38, 0x7e0, v19, v43
	ds_read2_b32 v[0:1], v5 offset0:128 offset1:240
	ds_read2_b32 v[13:14], v55 offset1:112
	ds_read2_b32 v[19:20], v4 offset0:96 offset1:208
	v_lshl_add_u32 v124, v21, 2, v82
	ds_read2_b32 v[21:22], v7 offset0:96 offset1:208
	ds_read2_b32 v[23:24], v10 offset0:64 offset1:176
	v_lshl_add_u32 v123, v26, 2, v82
	v_lshl_add_u32 v125, v27, 2, v82
	;; [unrolled: 1-line block ×3, first 2 shown]
	ds_read2_b32 v[26:27], v6 offset0:64 offset1:176
	ds_read2_b32 v[28:29], v9 offset0:32 offset1:144
	v_lshl_add_u32 v118, v30, 2, v82
	v_lshl_add_u32 v119, v31, 2, v82
	ds_read2_b32 v[30:31], v11 offset0:32 offset1:144
	ds_read2_b32 v[32:33], v8 offset1:112
	v_lshl_add_u32 v121, v37, 2, v82
	v_lshl_add_u32 v122, v38, 2, v82
	v_and_b32_e32 v34, 31, v18
	v_and_b32_e32 v35, 31, v17
	s_waitcnt vmcnt(0) lgkmcnt(0)
	s_barrier
	buffer_gl0_inv
	v_and_b32_e32 v25, 31, v65
	v_lshrrev_b32_e32 v37, 16, v1
	v_lshrrev_b32_e32 v38, 16, v13
	;; [unrolled: 1-line block ×18, first 2 shown]
	v_lshlrev_b32_e32 v39, 3, v34
	v_lshlrev_b32_e32 v40, 3, v35
	;; [unrolled: 1-line block ×3, first 2 shown]
	v_mul_f16_sdwa v131, v1, v107 dst_sel:DWORD dst_unused:UNUSED_PAD src0_sel:DWORD src1_sel:WORD_1
	v_mul_f16_sdwa v132, v37, v107 dst_sel:DWORD dst_unused:UNUSED_PAD src0_sel:DWORD src1_sel:WORD_1
	v_mul_f16_sdwa v133, v19, v107 dst_sel:DWORD dst_unused:UNUSED_PAD src0_sel:DWORD src1_sel:WORD_1
	v_mul_f16_sdwa v134, v41, v107 dst_sel:DWORD dst_unused:UNUSED_PAD src0_sel:DWORD src1_sel:WORD_1
	v_mul_f16_sdwa v135, v43, v107 dst_sel:DWORD dst_unused:UNUSED_PAD src0_sel:DWORD src1_sel:WORD_1
	v_mul_f16_sdwa v136, v20, v107 dst_sel:DWORD dst_unused:UNUSED_PAD src0_sel:DWORD src1_sel:WORD_1
	v_mul_f16_sdwa v137, v23, v107 dst_sel:DWORD dst_unused:UNUSED_PAD src0_sel:DWORD src1_sel:WORD_1
	v_mul_f16_sdwa v138, v45, v107 dst_sel:DWORD dst_unused:UNUSED_PAD src0_sel:DWORD src1_sel:WORD_1
	v_mul_f16_sdwa v139, v47, v107 dst_sel:DWORD dst_unused:UNUSED_PAD src0_sel:DWORD src1_sel:WORD_1
	v_mul_f16_sdwa v140, v24, v107 dst_sel:DWORD dst_unused:UNUSED_PAD src0_sel:DWORD src1_sel:WORD_1
	v_mul_f16_sdwa v141, v28, v107 dst_sel:DWORD dst_unused:UNUSED_PAD src0_sel:DWORD src1_sel:WORD_1
	v_mul_f16_sdwa v142, v114, v107 dst_sel:DWORD dst_unused:UNUSED_PAD src0_sel:DWORD src1_sel:WORD_1
	v_mul_f16_sdwa v143, v120, v107 dst_sel:DWORD dst_unused:UNUSED_PAD src0_sel:DWORD src1_sel:WORD_1
	v_mul_f16_sdwa v144, v29, v107 dst_sel:DWORD dst_unused:UNUSED_PAD src0_sel:DWORD src1_sel:WORD_1
	v_mul_f16_sdwa v145, v32, v107 dst_sel:DWORD dst_unused:UNUSED_PAD src0_sel:DWORD src1_sel:WORD_1
	v_mul_f16_sdwa v146, v127, v107 dst_sel:DWORD dst_unused:UNUSED_PAD src0_sel:DWORD src1_sel:WORD_1
	v_mul_f16_sdwa v147, v129, v107 dst_sel:DWORD dst_unused:UNUSED_PAD src0_sel:DWORD src1_sel:WORD_1
	v_mul_f16_sdwa v148, v33, v107 dst_sel:DWORD dst_unused:UNUSED_PAD src0_sel:DWORD src1_sel:WORD_1
	v_fmac_f16_e32 v131, v37, v107
	v_fma_f16 v1, v1, v107, -v132
	v_fmac_f16_e32 v133, v41, v107
	v_fma_f16 v19, v19, v107, -v134
	v_fma_f16 v20, v20, v107, -v135
	v_fmac_f16_e32 v136, v43, v107
	v_fmac_f16_e32 v137, v45, v107
	v_fma_f16 v23, v23, v107, -v138
	v_fma_f16 v24, v24, v107, -v139
	v_fmac_f16_e32 v140, v47, v107
	;; [unrolled: 4-line block ×4, first 2 shown]
	v_sub_f16_e32 v37, v38, v131
	v_sub_f16_e32 v1, v13, v1
	;; [unrolled: 1-line block ×18, first 2 shown]
	v_fma_f16 v38, v38, 2.0, -v37
	v_pack_b32_f16 v37, v1, v37
	v_fma_f16 v1, v13, 2.0, -v1
	v_fma_f16 v13, v14, 2.0, -v19
	;; [unrolled: 1-line block ×3, first 2 shown]
	v_pack_b32_f16 v19, v19, v41
	v_fma_f16 v41, v44, 2.0, -v43
	v_pack_b32_f16 v42, v20, v43
	v_fma_f16 v20, v21, 2.0, -v20
	v_fma_f16 v21, v22, 2.0, -v23
	v_fma_f16 v22, v46, 2.0, -v45
	v_fma_f16 v43, v113, 2.0, -v47
	v_pack_b32_f16 v44, v24, v47
	v_fma_f16 v24, v26, 2.0, -v24
	v_pack_b32_f16 v23, v23, v45
	v_fma_f16 v26, v27, 2.0, -v28
	v_fma_f16 v27, v115, 2.0, -v114
	v_fma_f16 v45, v126, 2.0, -v120
	v_pack_b32_f16 v46, v29, v120
	v_fma_f16 v29, v30, 2.0, -v29
	v_fma_f16 v30, v31, 2.0, -v32
	;; [unrolled: 1-line block ×5, first 2 shown]
	v_pack_b32_f16 v1, v1, v38
	v_pack_b32_f16 v13, v13, v14
	;; [unrolled: 1-line block ×12, first 2 shown]
	ds_write2_b32 v116, v1, v37 offset1:16
	ds_write2_b32 v123, v13, v19 offset1:16
	;; [unrolled: 1-line block ×9, first 2 shown]
	v_and_b32_e32 v21, 31, v15
	s_waitcnt lgkmcnt(0)
	s_barrier
	buffer_gl0_inv
	s_clause 0x7
	global_load_dword v114, v39, s[14:15] offset:120
	global_load_dword v120, v39, s[14:15] offset:122
	;; [unrolled: 1-line block ×3, first 2 shown]
	global_load_ushort v115, v39, s[14:15] offset:126
	global_load_ushort v126, v40, s[14:15] offset:120
	global_load_dwordx2 v[13:14], v36, s[14:15] offset:120
	global_load_ushort v129, v40, s[14:15] offset:122
	global_load_ushort v128, v40, s[14:15] offset:126
	v_lshlrev_b32_e32 v0, 3, v21
	s_clause 0x1
	global_load_ushort v130, v0, s[14:15] offset:120
	global_load_ushort v127, v40, s[14:15] offset:124
	v_add_co_u32 v0, s0, 0xffffffa0, v65
	v_add_co_ci_u32_e64 v1, null, 0, -1, s0
	v_lshrrev_b32_e32 v19, 5, v65
	v_mov_b32_e32 v20, 0xaaab
	v_cndmask_b32_e32 v0, v0, v65, vcc_lo
	v_cndmask_b32_e64 v1, v1, 0, vcc_lo
	v_lshrrev_b32_e32 v24, 5, v15
	v_mul_u32_u24_e32 v23, 0x60, v19
	v_lshrrev_b32_e32 v26, 5, v3
	v_lshrrev_b32_e32 v27, 5, v17
	;; [unrolled: 1-line block ×3, first 2 shown]
	v_mul_u32_u24_sdwa v32, v3, v20 dst_sel:DWORD dst_unused:UNUSED_PAD src0_sel:WORD_0 src1_sel:DWORD
	v_lshrrev_b32_e32 v29, 5, v18
	v_mul_u32_u24_sdwa v30, v17, v20 dst_sel:DWORD dst_unused:UNUSED_PAD src0_sel:WORD_0 src1_sel:DWORD
	v_and_b32_e32 v31, 0xff, v15
	v_mul_u32_u24_sdwa v33, v16, v20 dst_sel:DWORD dst_unused:UNUSED_PAD src0_sel:WORD_0 src1_sel:DWORD
	v_mul_u32_u24_sdwa v36, v18, v20 dst_sel:DWORD dst_unused:UNUSED_PAD src0_sel:WORD_0 src1_sel:DWORD
	v_lshlrev_b64 v[19:20], 3, v[0:1]
	v_or_b32_e32 v1, v23, v25
	v_mul_u32_u24_e32 v23, 0x60, v24
	v_mul_u32_u24_e32 v24, 0x60, v26
	;; [unrolled: 1-line block ×4, first 2 shown]
	v_lshrrev_b32_e32 v40, 22, v32
	v_mul_u32_u24_e32 v28, 0x60, v29
	v_lshrrev_b32_e32 v39, 22, v30
	v_mul_lo_u16 v29, 0xab, v31
	v_lshrrev_b32_e32 v41, 22, v33
	v_lshl_add_u32 v136, v1, 2, v82
	v_or_b32_e32 v1, v23, v21
	v_or_b32_e32 v21, v24, v25
	;; [unrolled: 1-line block ×3, first 2 shown]
	v_mul_lo_u16 v27, 0x60, v40
	v_or_b32_e32 v23, v26, v35
	v_mul_lo_u16 v26, 0x60, v39
	v_lshrrev_b16 v43, 14, v29
	v_or_b32_e32 v25, v28, v34
	v_mul_lo_u16 v28, 0x60, v41
	v_lshl_add_u32 v135, v1, 2, v82
	v_sub_nc_u16 v1, v3, v27
	v_lshrrev_b32_e32 v42, 22, v36
	v_sub_nc_u16 v44, v17, v26
	v_mul_lo_u16 v17, 0x60, v43
	v_sub_nc_u16 v45, v16, v28
	v_lshlrev_b16 v16, 3, v1
	v_mov_b32_e32 v22, 3
	v_mul_lo_u16 v29, 0x60, v42
	v_lshl_add_u32 v134, v21, 2, v82
	v_lshlrev_b16 v21, 3, v44
	v_sub_nc_u16 v46, v15, v17
	v_lshl_add_u32 v133, v25, 2, v82
	v_and_b32_e32 v25, 0xffff, v16
	v_lshl_add_u32 v132, v23, 2, v82
	v_lshl_add_u32 v131, v24, 2, v82
	v_sub_nc_u16 v47, v18, v29
	v_and_b32_e32 v35, 0xffff, v21
	v_lshlrev_b32_sdwa v138, v22, v46 dst_sel:DWORD dst_unused:UNUSED_PAD src0_sel:DWORD src1_sel:BYTE_0
	ds_read2_b32 v[15:16], v11 offset0:32 offset1:144
	ds_read2_b32 v[17:18], v10 offset0:64 offset1:176
	ds_read2_b32 v[21:22], v55 offset1:112
	ds_read2_b32 v[23:24], v5 offset0:128 offset1:240
	v_add_co_u32 v29, s0, s14, v25
	ds_read2_b32 v[25:26], v9 offset0:32 offset1:144
	ds_read2_b32 v[27:28], v7 offset0:96 offset1:208
	;; [unrolled: 1-line block ×3, first 2 shown]
	ds_read2_b32 v[33:34], v8 offset1:112
	ds_read2_b32 v[37:38], v6 offset0:64 offset1:176
	v_lshlrev_b16 v137, 3, v45
	s_waitcnt vmcnt(0) lgkmcnt(0)
	s_barrier
	buffer_gl0_inv
	v_add_co_u32 v19, vcc_lo, s14, v19
	v_add_co_ci_u32_e64 v30, null, s15, 0, s0
	v_add_co_u32 v35, s0, s14, v35
	v_add_co_ci_u32_e32 v20, vcc_lo, s15, v20, vcc_lo
	v_lshrrev_b32_e32 v139, 16, v15
	v_lshrrev_b32_e32 v140, 16, v16
	v_lshrrev_b32_e32 v141, 16, v17
	v_lshrrev_b32_e32 v142, 16, v18
	v_lshrrev_b32_e32 v146, 16, v23
	v_lshrrev_b32_e32 v148, 16, v25
	v_lshrrev_b32_e32 v147, 16, v24
	v_lshrrev_b32_e32 v149, 16, v26
	v_lshrrev_b32_e32 v152, 16, v31
	v_lshrrev_b32_e32 v153, 16, v32
	v_lshrrev_b32_e32 v154, 16, v33
	v_lshrrev_b32_e32 v155, 16, v34
	v_lshrrev_b32_e32 v145, 16, v21
	v_lshrrev_b32_e32 v144, 16, v22
	v_lshrrev_b32_e32 v151, 16, v27
	v_lshrrev_b32_e32 v150, 16, v28
	v_lshrrev_b32_e32 v156, 16, v38
	v_lshrrev_b32_e32 v157, 16, v37
	v_add_co_ci_u32_e64 v36, null, s15, 0, s0
	v_cmp_lt_u16_e32 vcc_lo, 0x5f, v2
	v_mad_u16 v1, 0x120, v40, v1
	v_mul_f16_sdwa v159, v140, v114 dst_sel:DWORD dst_unused:UNUSED_PAD src0_sel:DWORD src1_sel:WORD_1
	v_mul_f16_sdwa v161, v16, v114 dst_sel:DWORD dst_unused:UNUSED_PAD src0_sel:DWORD src1_sel:WORD_1
	v_lshrrev_b32_e32 v143, 16, v120
	v_mul_f16_sdwa v163, v142, v113 dst_sel:DWORD dst_unused:UNUSED_PAD src0_sel:DWORD src1_sel:WORD_1
	v_mul_f16_sdwa v165, v18, v113 dst_sel:DWORD dst_unused:UNUSED_PAD src0_sel:DWORD src1_sel:WORD_1
	;; [unrolled: 1-line block ×8, first 2 shown]
	v_mul_f16_e32 v169, v24, v129
	v_mul_f16_sdwa v170, v148, v14 dst_sel:DWORD dst_unused:UNUSED_PAD src0_sel:DWORD src1_sel:WORD_1
	v_mul_f16_sdwa v172, v25, v14 dst_sel:DWORD dst_unused:UNUSED_PAD src0_sel:DWORD src1_sel:WORD_1
	v_mul_f16_e32 v173, v26, v128
	v_mul_f16_e32 v167, v147, v129
	v_mul_f16_e32 v171, v149, v128
	v_mul_f16_sdwa v174, v152, v13 dst_sel:DWORD dst_unused:UNUSED_PAD src0_sel:DWORD src1_sel:WORD_1
	v_mul_f16_e32 v175, v153, v120
	v_mul_f16_sdwa v176, v31, v13 dst_sel:DWORD dst_unused:UNUSED_PAD src0_sel:DWORD src1_sel:WORD_1
	v_mul_f16_e32 v177, v32, v120
	;; [unrolled: 2-line block ×3, first 2 shown]
	v_mul_f16_e32 v180, v34, v115
	v_mul_f16_sdwa v181, v33, v14 dst_sel:DWORD dst_unused:UNUSED_PAD src0_sel:DWORD src1_sel:WORD_1
	v_fma_f16 v15, v15, v13, -v158
	v_fma_f16 v16, v16, v130, -v159
	;; [unrolled: 1-line block ×4, first 2 shown]
	v_fmac_f16_e32 v160, v139, v13
	v_fmac_f16_e32 v164, v141, v14
	;; [unrolled: 1-line block ×4, first 2 shown]
	v_fma_f16 v23, v23, v13, -v166
	v_fma_f16 v25, v25, v14, -v170
	v_fmac_f16_e32 v168, v146, v13
	v_fmac_f16_e32 v172, v148, v14
	;; [unrolled: 1-line block ×4, first 2 shown]
	v_fma_f16 v24, v24, v126, -v167
	v_fma_f16 v26, v26, v127, -v171
	;; [unrolled: 1-line block ×6, first 2 shown]
	v_fmac_f16_e32 v177, v153, v114
	v_fmac_f16_e32 v180, v155, v113
	;; [unrolled: 1-line block ×4, first 2 shown]
	v_add_f16_e32 v139, v16, v18
	v_add_f16_e32 v141, v161, v165
	;; [unrolled: 1-line block ×8, first 2 shown]
	v_sub_f16_e32 v146, v161, v165
	v_add_f16_e32 v158, v169, v173
	v_add_f16_e32 v161, v23, v25
	;; [unrolled: 1-line block ×5, first 2 shown]
	v_sub_f16_e32 v16, v16, v18
	v_sub_f16_e32 v153, v160, v164
	;; [unrolled: 1-line block ×3, first 2 shown]
	v_add_f16_e32 v154, v24, v26
	v_add_f16_e32 v155, v28, v24
	;; [unrolled: 1-line block ×3, first 2 shown]
	v_sub_f16_e32 v167, v168, v172
	v_add_f16_e32 v168, v32, v34
	v_add_f16_e32 v170, v177, v180
	;; [unrolled: 1-line block ×3, first 2 shown]
	v_sub_f16_e32 v174, v177, v180
	v_add_f16_e32 v175, v31, v33
	v_add_f16_e32 v177, v37, v31
	;; [unrolled: 1-line block ×4, first 2 shown]
	v_fmac_f16_e32 v22, -0.5, v139
	v_fmac_f16_e32 v144, -0.5, v141
	v_fma_f16 v21, -0.5, v147, v21
	v_add_f16_e32 v139, v149, v164
	v_add_f16_e32 v17, v148, v17
	v_fmac_f16_e32 v145, -0.5, v152
	v_sub_f16_e32 v160, v169, v173
	v_add_f16_e32 v169, v38, v32
	v_sub_f16_e32 v24, v24, v26
	v_sub_f16_e32 v23, v23, v25
	v_add_f16_e32 v18, v140, v18
	v_add_f16_e32 v140, v142, v165
	v_fmac_f16_e32 v150, -0.5, v158
	v_fma_f16 v27, -0.5, v161, v27
	v_add_f16_e32 v141, v163, v172
	v_add_f16_e32 v25, v162, v25
	v_fmac_f16_e32 v151, -0.5, v166
	v_sub_f16_e32 v32, v32, v34
	v_sub_f16_e32 v31, v31, v33
	;; [unrolled: 1-line block ×3, first 2 shown]
	v_fmac_f16_e32 v28, -0.5, v154
	v_add_f16_e32 v26, v155, v26
	v_add_f16_e32 v142, v159, v173
	v_fmac_f16_e32 v38, -0.5, v168
	v_fmac_f16_e32 v156, -0.5, v170
	v_fma_f16 v37, -0.5, v175, v37
	v_add_f16_e32 v33, v177, v33
	v_add_f16_e32 v147, v178, v181
	v_fmac_f16_e32 v157, -0.5, v179
	v_fmamk_f16 v149, v146, 0x3aee, v22
	v_fmac_f16_e32 v22, 0xbaee, v146
	v_fmamk_f16 v146, v16, 0xbaee, v144
	v_fmac_f16_e32 v144, 0x3aee, v16
	v_pack_b32_f16 v16, v17, v139
	v_fmamk_f16 v17, v153, 0x3aee, v21
	v_fmamk_f16 v139, v15, 0xbaee, v145
	v_fmac_f16_e32 v21, 0xbaee, v153
	v_fmac_f16_e32 v145, 0x3aee, v15
	v_add_f16_e32 v34, v169, v34
	v_add_f16_e32 v148, v171, v180
	v_pack_b32_f16 v15, v18, v140
	v_fmamk_f16 v140, v24, 0xbaee, v150
	v_fmac_f16_e32 v150, 0x3aee, v24
	v_pack_b32_f16 v24, v25, v141
	v_fmamk_f16 v25, v167, 0x3aee, v27
	v_fmamk_f16 v141, v23, 0xbaee, v151
	;; [unrolled: 1-line block ×3, first 2 shown]
	v_fmac_f16_e32 v28, 0xbaee, v160
	v_fmac_f16_e32 v27, 0xbaee, v167
	;; [unrolled: 1-line block ×3, first 2 shown]
	v_pack_b32_f16 v23, v26, v142
	v_fmamk_f16 v26, v174, 0x3aee, v38
	v_fmac_f16_e32 v38, 0xbaee, v174
	v_fmamk_f16 v142, v32, 0xbaee, v156
	v_fmac_f16_e32 v156, 0x3aee, v32
	v_pack_b32_f16 v32, v33, v147
	v_fmamk_f16 v33, v176, 0x3aee, v37
	v_fmamk_f16 v147, v31, 0xbaee, v157
	v_fmac_f16_e32 v37, 0xbaee, v176
	v_fmac_f16_e32 v157, 0x3aee, v31
	v_pack_b32_f16 v17, v17, v139
	v_pack_b32_f16 v21, v21, v145
	;; [unrolled: 1-line block ×13, first 2 shown]
	ds_write2_b32 v136, v16, v17 offset1:32
	ds_write_b32 v136, v21 offset:256
	ds_write2_b32 v135, v15, v34 offset1:32
	ds_write_b32 v135, v22 offset:256
	;; [unrolled: 2-line block ×6, first 2 shown]
	v_lshlrev_b16 v15, 3, v47
	v_and_b32_e32 v16, 0xffff, v137
	s_waitcnt lgkmcnt(0)
	s_barrier
	buffer_gl0_inv
	v_and_b32_e32 v17, 0xffff, v15
	v_add_co_u32 v15, s0, s14, v16
	v_add_co_ci_u32_e64 v16, null, s15, 0, s0
	v_add_co_u32 v17, s0, s14, v17
	s_clause 0x2
	global_load_dwordx2 v[27:28], v[19:20], off offset:376
	global_load_dwordx2 v[19:20], v[35:36], off offset:376
	global_load_dwordx2 v[25:26], v138, s[14:15] offset:376
	v_add_co_ci_u32_e64 v18, null, s15, 0, s0
	s_clause 0x2
	global_load_dwordx2 v[23:24], v[29:30], off offset:376
	global_load_dwordx2 v[21:22], v[15:16], off offset:376
	;; [unrolled: 1-line block ×3, first 2 shown]
	v_cndmask_b32_e64 v15, 0, 0x120, vcc_lo
	v_mov_b32_e32 v16, 0x120
	v_mad_u16 v29, 0x120, v42, v47
	v_and_b32_e32 v33, 0xffff, v1
	ds_read2_b32 v[34:35], v9 offset0:32 offset1:144
	v_add_nc_u32_e32 v0, v0, v15
	v_mad_u16 v15, 0x120, v39, v44
	ds_read2_b32 v[36:37], v7 offset0:96 offset1:208
	v_lshl_add_u32 v142, v33, 2, v82
	v_add_nc_u32_e32 v31, 0x400, v55
	v_lshl_add_u32 v140, v0, 2, v82
	v_mul_u32_u24_sdwa v0, v43, v16 dst_sel:DWORD dst_unused:UNUSED_PAD src0_sel:WORD_0 src1_sel:DWORD
	v_mad_u16 v16, 0x120, v41, v45
	v_and_b32_e32 v38, 0xffff, v15
	v_and_b32_e32 v41, 0xffff, v29
	ds_read2_b32 v[29:30], v5 offset0:128 offset1:240
	v_add_nc_u32_sdwa v32, v0, v46 dst_sel:DWORD dst_unused:UNUSED_PAD src0_sel:DWORD src1_sel:BYTE_0
	ds_read2_b32 v[0:1], v11 offset0:32 offset1:144
	ds_read2_b32 v[10:11], v10 offset0:64 offset1:176
	v_and_b32_e32 v40, 0xffff, v16
	ds_read2_b32 v[15:16], v55 offset1:112
	v_lshl_add_u32 v141, v32, 2, v82
	v_lshl_add_u32 v137, v38, 2, v82
	ds_read2_b32 v[38:39], v4 offset0:96 offset1:208
	ds_read2_b32 v[7:8], v8 offset1:112
	ds_read2_b32 v[32:33], v6 offset0:64 offset1:176
	v_lshl_add_u32 v139, v40, 2, v82
	v_lshl_add_u32 v138, v41, 2, v82
	s_waitcnt lgkmcnt(8)
	v_lshrrev_b32_e32 v46, 16, v34
	v_lshrrev_b32_e32 v47, 16, v35
	s_waitcnt lgkmcnt(7)
	v_lshrrev_b32_e32 v154, 16, v37
	v_lshrrev_b32_e32 v155, 16, v36
	v_add_nc_u32_e32 v151, 0x800, v55
	v_add_nc_u32_e32 v152, 0x1600, v55
	;; [unrolled: 1-line block ×3, first 2 shown]
	s_waitcnt vmcnt(0) lgkmcnt(0)
	s_barrier
	v_lshrrev_b32_e32 v44, 16, v29
	v_lshrrev_b32_e32 v45, 16, v30
	;; [unrolled: 1-line block ×14, first 2 shown]
	buffer_gl0_inv
	v_cmp_gt_u16_e32 vcc_lo, 64, v2
	v_mul_f16_sdwa v150, v6, v27 dst_sel:DWORD dst_unused:UNUSED_PAD src0_sel:DWORD src1_sel:WORD_1
	v_mul_f16_sdwa v157, v0, v27 dst_sel:DWORD dst_unused:UNUSED_PAD src0_sel:DWORD src1_sel:WORD_1
	;; [unrolled: 1-line block ×24, first 2 shown]
	v_fma_f16 v0, v0, v27, -v150
	v_fma_f16 v1, v1, v25, -v156
	;; [unrolled: 1-line block ×4, first 2 shown]
	v_fmac_f16_e32 v157, v6, v27
	v_fmac_f16_e32 v161, v40, v28
	;; [unrolled: 1-line block ×4, first 2 shown]
	v_fma_f16 v6, v29, v23, -v163
	v_fma_f16 v9, v30, v19, -v164
	;; [unrolled: 1-line block ×4, first 2 shown]
	v_fmac_f16_e32 v165, v44, v23
	v_fmac_f16_e32 v169, v46, v24
	;; [unrolled: 1-line block ×6, first 2 shown]
	v_fma_f16 v34, v38, v21, -v173
	v_fma_f16 v7, v7, v22, -v174
	;; [unrolled: 1-line block ×4, first 2 shown]
	v_fmac_f16_e32 v176, v148, v17
	v_fmac_f16_e32 v178, v149, v18
	v_add_f16_e32 v38, v1, v11
	v_add_f16_e32 v40, v158, v162
	;; [unrolled: 1-line block ×8, first 2 shown]
	v_sub_f16_e32 v44, v158, v162
	v_sub_f16_e32 v149, v157, v161
	v_add_f16_e32 v147, v9, v30
	v_add_f16_e32 v148, v37, v9
	;; [unrolled: 1-line block ×4, first 2 shown]
	v_sub_f16_e32 v157, v166, v170
	v_add_f16_e32 v158, v6, v29
	v_add_f16_e32 v159, v36, v6
	;; [unrolled: 1-line block ×4, first 2 shown]
	v_sub_f16_e32 v164, v165, v169
	v_add_f16_e32 v165, v144, v171
	v_sub_f16_e32 v166, v171, v172
	v_add_f16_e32 v167, v171, v172
	v_add_f16_e32 v171, v34, v7
	;; [unrolled: 1-line block ×4, first 2 shown]
	v_sub_f16_e32 v1, v1, v11
	v_sub_f16_e32 v0, v0, v10
	v_fmac_f16_e32 v16, -0.5, v38
	v_fmac_f16_e32 v42, -0.5, v40
	v_fma_f16 v15, -0.5, v45, v15
	v_add_f16_e32 v10, v46, v10
	v_add_f16_e32 v38, v47, v161
	v_fmac_f16_e32 v43, -0.5, v145
	v_add_f16_e32 v173, v33, v35
	v_sub_f16_e32 v9, v9, v30
	v_sub_f16_e32 v6, v6, v29
	v_add_f16_e32 v168, v32, v34
	v_sub_f16_e32 v34, v34, v7
	v_sub_f16_e32 v35, v35, v8
	v_add_f16_e32 v175, v146, v176
	v_sub_f16_e32 v176, v176, v178
	v_add_f16_e32 v11, v39, v11
	v_add_f16_e32 v39, v41, v162
	v_fmac_f16_e32 v37, -0.5, v147
	v_fmac_f16_e32 v154, -0.5, v150
	v_fma_f16 v36, -0.5, v158, v36
	v_add_f16_e32 v40, v160, v169
	v_add_f16_e32 v29, v159, v29
	v_fmac_f16_e32 v155, -0.5, v163
	v_add_f16_e32 v30, v148, v30
	v_add_f16_e32 v41, v156, v170
	v_fmac_f16_e32 v144, -0.5, v167
	v_fma_f16 v145, -0.5, v171, v32
	v_fmac_f16_e32 v33, -0.5, v174
	v_fmac_f16_e32 v146, -0.5, v177
	v_fmamk_f16 v32, v1, 0xbaee, v42
	v_fmac_f16_e32 v42, 0x3aee, v1
	v_pack_b32_f16 v1, v10, v38
	v_fmamk_f16 v10, v149, 0x3aee, v15
	v_fmamk_f16 v38, v0, 0xbaee, v43
	v_fmac_f16_e32 v15, 0xbaee, v149
	v_fmac_f16_e32 v43, 0x3aee, v0
	v_add_f16_e32 v147, v173, v8
	v_fmamk_f16 v8, v44, 0x3aee, v16
	v_fmac_f16_e32 v16, 0xbaee, v44
	v_add_f16_e32 v148, v175, v178
	v_pack_b32_f16 v0, v11, v39
	v_fmamk_f16 v11, v157, 0x3aee, v37
	v_fmac_f16_e32 v37, 0xbaee, v157
	v_fmamk_f16 v39, v9, 0xbaee, v154
	v_fmac_f16_e32 v154, 0x3aee, v9
	v_pack_b32_f16 v9, v29, v40
	v_fmamk_f16 v29, v164, 0x3aee, v36
	v_fmamk_f16 v40, v6, 0xbaee, v155
	v_fmac_f16_e32 v36, 0xbaee, v164
	v_fmac_f16_e32 v155, 0x3aee, v6
	v_pack_b32_f16 v6, v30, v41
	v_fmamk_f16 v30, v166, 0x3aee, v145
	v_fmamk_f16 v41, v34, 0xbaee, v144
	v_fmac_f16_e32 v145, 0xbaee, v166
	v_fmac_f16_e32 v144, 0x3aee, v34
	v_fmamk_f16 v149, v176, 0x3aee, v33
	v_fmamk_f16 v150, v35, 0xbaee, v146
	v_fmac_f16_e32 v33, 0xbaee, v176
	v_fmac_f16_e32 v146, 0x3aee, v35
	v_add_f16_e32 v45, v165, v172
	v_add_f16_e32 v7, v168, v7
	v_pack_b32_f16 v10, v10, v38
	v_pack_b32_f16 v15, v15, v43
	;; [unrolled: 1-line block ×14, first 2 shown]
	ds_write2_b32 v140, v1, v10 offset1:96
	ds_write_b32 v140, v15 offset:768
	ds_write2_b32 v141, v0, v8 offset1:96
	ds_write_b32 v141, v16 offset:768
	;; [unrolled: 2-line block ×6, first 2 shown]
	s_waitcnt lgkmcnt(0)
	s_barrier
	buffer_gl0_inv
	ds_read2_b32 v[46:47], v31 offset0:32 offset1:144
	ds_read2_b32 v[44:45], v151 offset0:64 offset1:176
	;; [unrolled: 1-line block ×6, first 2 shown]
	ds_read2_b32 v[34:35], v55 offset1:112
                                        ; implicit-def: $vgpr151
                                        ; implicit-def: $vgpr154
                                        ; implicit-def: $vgpr153
                                        ; implicit-def: $vgpr155
                                        ; implicit-def: $vgpr152
                                        ; implicit-def: $vgpr156
	s_and_saveexec_b32 s0, vcc_lo
	s_cbranch_execz .LBB0_3
; %bb.2:
	ds_read_b32 v145, v55 offset:896
	ds_read_b32 v147, v55 offset:2048
	;; [unrolled: 1-line block ×7, first 2 shown]
	s_waitcnt lgkmcnt(6)
	v_lshrrev_b32_e32 v144, 16, v145
	s_waitcnt lgkmcnt(5)
	v_lshrrev_b32_e32 v148, 16, v147
	;; [unrolled: 2-line block ×7, first 2 shown]
.LBB0_3:
	s_or_b32 exec_lo, exec_lo, s0
	v_mad_u64_u32 v[0:1], null, v65, 24, s[14:15]
	s_waitcnt lgkmcnt(6)
	v_lshrrev_b32_e32 v157, 16, v46
	s_waitcnt lgkmcnt(5)
	v_lshrrev_b32_e32 v158, 16, v44
	;; [unrolled: 2-line block ×6, first 2 shown]
	s_clause 0x1
	global_load_dwordx4 v[8:11], v[0:1], off offset:1144
	global_load_dwordx2 v[29:30], v[0:1], off offset:1160
	v_add_co_u32 v0, s0, 0xa80, v0
	v_add_co_ci_u32_e64 v1, s0, 0, v1, s0
	v_lshrrev_b32_e32 v163, 16, v47
	v_lshrrev_b32_e32 v164, 16, v45
	s_clause 0x1
	global_load_dwordx4 v[4:7], v[0:1], off offset:1144
	global_load_dwordx2 v[31:32], v[0:1], off offset:1160
	v_subrev_nc_u32_e32 v0, 64, v65
	v_lshrrev_b32_e32 v165, 16, v43
	v_lshrrev_b32_e32 v166, 16, v41
	;; [unrolled: 1-line block ×4, first 2 shown]
	v_cndmask_b32_e32 v0, v0, v3, vcc_lo
	v_lshl_add_u32 v82, v65, 2, v82
	v_mul_i32_i24_e32 v1, 24, v0
	v_mul_hi_i32_i24_e32 v0, 24, v0
	v_add_co_u32 v15, s0, s14, v1
	v_add_co_ci_u32_e64 v16, s0, s15, v0, s0
	s_clause 0x1
	global_load_dwordx4 v[0:3], v[15:16], off offset:1144
	global_load_dwordx2 v[15:16], v[15:16], off offset:1160
	s_waitcnt vmcnt(5)
	v_mul_f16_sdwa v169, v157, v8 dst_sel:DWORD dst_unused:UNUSED_PAD src0_sel:DWORD src1_sel:WORD_1
	v_mul_f16_sdwa v170, v46, v8 dst_sel:DWORD dst_unused:UNUSED_PAD src0_sel:DWORD src1_sel:WORD_1
	;; [unrolled: 1-line block ×8, first 2 shown]
	s_waitcnt vmcnt(4)
	v_mul_f16_sdwa v177, v161, v29 dst_sel:DWORD dst_unused:UNUSED_PAD src0_sel:DWORD src1_sel:WORD_1
	v_mul_f16_sdwa v178, v38, v29 dst_sel:DWORD dst_unused:UNUSED_PAD src0_sel:DWORD src1_sel:WORD_1
	;; [unrolled: 1-line block ×4, first 2 shown]
	v_fma_f16 v46, v46, v8, -v169
	v_fmac_f16_e32 v170, v157, v8
	v_fma_f16 v44, v44, v9, -v171
	v_fmac_f16_e32 v172, v158, v9
	;; [unrolled: 2-line block ×6, first 2 shown]
	s_waitcnt vmcnt(3)
	v_mul_f16_sdwa v157, v163, v4 dst_sel:DWORD dst_unused:UNUSED_PAD src0_sel:DWORD src1_sel:WORD_1
	v_mul_f16_sdwa v158, v47, v4 dst_sel:DWORD dst_unused:UNUSED_PAD src0_sel:DWORD src1_sel:WORD_1
	;; [unrolled: 1-line block ×8, first 2 shown]
	s_waitcnt vmcnt(2)
	v_mul_f16_sdwa v173, v167, v31 dst_sel:DWORD dst_unused:UNUSED_PAD src0_sel:DWORD src1_sel:WORD_1
	v_mul_f16_sdwa v175, v39, v31 dst_sel:DWORD dst_unused:UNUSED_PAD src0_sel:DWORD src1_sel:WORD_1
	;; [unrolled: 1-line block ×4, first 2 shown]
	v_fma_f16 v47, v47, v4, -v157
	v_fmac_f16_e32 v158, v163, v4
	v_fma_f16 v45, v45, v5, -v159
	v_fmac_f16_e32 v160, v164, v5
	;; [unrolled: 2-line block ×6, first 2 shown]
	v_add_f16_e32 v157, v46, v36
	v_add_f16_e32 v159, v170, v180
	v_sub_f16_e32 v36, v46, v36
	v_sub_f16_e32 v46, v170, v180
	v_add_f16_e32 v161, v44, v38
	v_add_f16_e32 v163, v172, v178
	v_sub_f16_e32 v38, v44, v38
	v_sub_f16_e32 v44, v172, v178
	;; [unrolled: 4-line block ×3, first 2 shown]
	s_waitcnt vmcnt(1)
	v_mul_f16_sdwa v166, v148, v0 dst_sel:DWORD dst_unused:UNUSED_PAD src0_sel:DWORD src1_sel:WORD_1
	v_mul_f16_sdwa v167, v147, v0 dst_sel:DWORD dst_unused:UNUSED_PAD src0_sel:DWORD src1_sel:WORD_1
	;; [unrolled: 1-line block ×4, first 2 shown]
	s_waitcnt vmcnt(0)
	v_mul_f16_sdwa v176, v154, v15 dst_sel:DWORD dst_unused:UNUSED_PAD src0_sel:DWORD src1_sel:WORD_1
	v_mul_f16_sdwa v177, v151, v15 dst_sel:DWORD dst_unused:UNUSED_PAD src0_sel:DWORD src1_sel:WORD_1
	v_mul_f16_sdwa v178, v155, v16 dst_sel:DWORD dst_unused:UNUSED_PAD src0_sel:DWORD src1_sel:WORD_1
	v_mul_f16_sdwa v180, v153, v16 dst_sel:DWORD dst_unused:UNUSED_PAD src0_sel:DWORD src1_sel:WORD_1
	v_mul_f16_sdwa v170, v146, v2 dst_sel:DWORD dst_unused:UNUSED_PAD src0_sel:DWORD src1_sel:WORD_1
	v_mul_f16_sdwa v172, v33, v2 dst_sel:DWORD dst_unused:UNUSED_PAD src0_sel:DWORD src1_sel:WORD_1
	v_mul_f16_sdwa v173, v156, v3 dst_sel:DWORD dst_unused:UNUSED_PAD src0_sel:DWORD src1_sel:WORD_1
	v_mul_f16_sdwa v174, v152, v3 dst_sel:DWORD dst_unused:UNUSED_PAD src0_sel:DWORD src1_sel:WORD_1
	v_add_f16_e32 v181, v161, v157
	v_add_f16_e32 v182, v163, v159
	v_sub_f16_e32 v183, v161, v157
	v_sub_f16_e32 v184, v163, v159
	;; [unrolled: 1-line block ×5, first 2 shown]
	v_add_f16_e32 v185, v40, v38
	v_add_f16_e32 v186, v42, v44
	v_sub_f16_e32 v187, v40, v38
	v_sub_f16_e32 v188, v42, v44
	;; [unrolled: 1-line block ×4, first 2 shown]
	v_add_f16_e32 v189, v47, v37
	v_add_f16_e32 v190, v158, v179
	v_sub_f16_e32 v37, v47, v37
	v_sub_f16_e32 v47, v158, v179
	v_add_f16_e32 v158, v45, v39
	v_add_f16_e32 v179, v160, v175
	v_sub_f16_e32 v39, v45, v39
	v_sub_f16_e32 v45, v160, v175
	;; [unrolled: 4-line block ×3, first 2 shown]
	v_fma_f16 v147, v147, v0, -v166
	v_fmac_f16_e32 v167, v148, v0
	v_fma_f16 v148, v149, v1, -v168
	v_fmac_f16_e32 v169, v150, v1
	;; [unrolled: 2-line block ×4, first 2 shown]
	v_sub_f16_e32 v163, v165, v163
	v_sub_f16_e32 v40, v36, v40
	;; [unrolled: 1-line block ×3, first 2 shown]
	v_fma_f16 v33, v33, v2, -v170
	v_fmac_f16_e32 v172, v146, v2
	v_fma_f16 v146, v152, v3, -v173
	v_fmac_f16_e32 v174, v156, v3
	v_add_f16_e32 v151, v164, v181
	v_add_f16_e32 v152, v165, v182
	;; [unrolled: 1-line block ×4, first 2 shown]
	v_mul_f16_e32 v153, 0x3a52, v157
	v_mul_f16_e32 v154, 0x3a52, v159
	;; [unrolled: 1-line block ×7, first 2 shown]
	v_add_f16_e32 v165, v158, v189
	v_add_f16_e32 v166, v179, v190
	v_sub_f16_e32 v168, v158, v189
	v_sub_f16_e32 v170, v179, v190
	;; [unrolled: 1-line block ×6, first 2 shown]
	v_add_f16_e32 v178, v41, v39
	v_add_f16_e32 v179, v43, v45
	v_sub_f16_e32 v181, v41, v39
	v_sub_f16_e32 v182, v43, v45
	;; [unrolled: 1-line block ×4, first 2 shown]
	v_add_f16_e32 v185, v147, v150
	v_add_f16_e32 v186, v167, v180
	v_sub_f16_e32 v147, v147, v150
	v_sub_f16_e32 v150, v167, v180
	v_add_f16_e32 v167, v148, v149
	v_add_f16_e32 v180, v169, v177
	v_mul_f16_e32 v156, 0x2b26, v163
	v_sub_f16_e32 v41, v37, v41
	v_sub_f16_e32 v43, v47, v43
	;; [unrolled: 1-line block ×4, first 2 shown]
	v_add_f16_e32 v169, v33, v146
	v_add_f16_e32 v177, v172, v174
	v_sub_f16_e32 v33, v146, v33
	v_sub_f16_e32 v146, v174, v172
	s_waitcnt lgkmcnt(0)
	v_add_f16_e32 v172, v34, v151
	v_add_f16_sdwa v34, v34, v152 dst_sel:DWORD dst_unused:UNUSED_PAD src0_sel:WORD_1 src1_sel:DWORD
	v_fmamk_f16 v161, v161, 0x2b26, v153
	v_fma_f16 v155, v183, 0x39e0, -v155
	v_fma_f16 v153, v183, 0xb9e0, -v153
	v_fmamk_f16 v174, v40, 0x3574, v157
	v_fmamk_f16 v183, v42, 0x3574, v159
	v_fma_f16 v38, v38, 0x3b00, -v157
	v_fma_f16 v157, v44, 0x3b00, -v159
	v_fma_f16 v40, v40, 0xb574, -v162
	v_fma_f16 v159, v42, 0xb574, -v164
	v_add_f16_e32 v42, v160, v165
	v_add_f16_e32 v44, v175, v166
	v_add_f16_e32 v37, v178, v37
	v_add_f16_e32 v47, v179, v47
	v_mul_f16_e32 v160, 0x3a52, v171
	v_mul_f16_e32 v162, 0x3a52, v173
	;; [unrolled: 1-line block ×8, first 2 shown]
	v_add_f16_e32 v178, v167, v185
	v_add_f16_e32 v179, v180, v186
	v_fmamk_f16 v163, v163, 0x2b26, v154
	v_fma_f16 v156, v184, 0x39e0, -v156
	v_fma_f16 v154, v184, 0xb9e0, -v154
	v_sub_f16_e32 v181, v167, v185
	v_sub_f16_e32 v182, v180, v186
	;; [unrolled: 1-line block ×6, first 2 shown]
	v_add_f16_e32 v186, v33, v148
	v_add_f16_e32 v187, v146, v149
	v_sub_f16_e32 v188, v33, v148
	v_sub_f16_e32 v189, v146, v149
	;; [unrolled: 1-line block ×5, first 2 shown]
	v_fmamk_f16 v33, v151, 0xbcab, v172
	v_fmamk_f16 v151, v152, 0xbcab, v34
	v_fmac_f16_e32 v174, 0x370e, v36
	v_fmac_f16_e32 v38, 0x370e, v36
	;; [unrolled: 1-line block ×3, first 2 shown]
	v_add_f16_e32 v36, v35, v42
	v_add_f16_sdwa v35, v35, v44 dst_sel:DWORD dst_unused:UNUSED_PAD src0_sel:WORD_1 src1_sel:DWORD
	v_fmamk_f16 v152, v158, 0x2b26, v160
	v_fmamk_f16 v158, v176, 0x2b26, v162
	v_fma_f16 v164, v168, 0x39e0, -v164
	v_fma_f16 v165, v170, 0x39e0, -v165
	v_fma_f16 v160, v168, 0xb9e0, -v160
	v_fma_f16 v162, v170, 0xb9e0, -v162
	v_fmamk_f16 v168, v41, 0x3574, v166
	v_fmamk_f16 v170, v43, 0x3574, v171
	v_fma_f16 v39, v39, 0x3b00, -v166
	v_fma_f16 v166, v45, 0x3b00, -v171
	;; [unrolled: 1-line block ×4, first 2 shown]
	v_add_f16_e32 v169, v169, v178
	v_add_f16_e32 v175, v177, v179
	v_sub_f16_e32 v146, v150, v146
	v_fmac_f16_e32 v183, 0x370e, v46
	v_fmac_f16_e32 v157, 0x370e, v46
	;; [unrolled: 1-line block ×3, first 2 shown]
	v_pack_b32_f16 v172, v172, v34
	v_mul_f16_e32 v41, 0x3a52, v184
	v_mul_f16_e32 v43, 0x3a52, v185
	;; [unrolled: 1-line block ×8, first 2 shown]
	v_add_f16_e32 v161, v161, v33
	v_add_f16_e32 v163, v163, v151
	;; [unrolled: 1-line block ×6, first 2 shown]
	v_fmamk_f16 v154, v42, 0xbcab, v36
	v_fmamk_f16 v184, v44, 0xbcab, v35
	v_add_f16_e32 v33, v145, v169
	v_add_f16_e32 v34, v144, v175
	;; [unrolled: 1-line block ×4, first 2 shown]
	v_fmac_f16_e32 v168, 0x370e, v37
	v_fmac_f16_e32 v170, 0x370e, v47
	v_fmac_f16_e32 v39, 0x370e, v37
	v_fmac_f16_e32 v166, 0x370e, v47
	v_fmac_f16_e32 v171, 0x370e, v37
	v_fmac_f16_e32 v173, 0x370e, v47
	v_pack_b32_f16 v35, v36, v35
	v_fmamk_f16 v36, v167, 0x2b26, v41
	v_fmamk_f16 v37, v180, 0x2b26, v43
	v_fma_f16 v47, v181, 0x39e0, -v45
	v_fma_f16 v145, v182, 0x39e0, -v46
	;; [unrolled: 1-line block ×4, first 2 shown]
	v_fmamk_f16 v42, v190, 0x3574, v176
	v_fmamk_f16 v43, v146, 0x3574, v177
	v_fma_f16 v44, v148, 0x3b00, -v176
	v_fma_f16 v41, v149, 0x3b00, -v177
	;; [unrolled: 1-line block ×4, first 2 shown]
	v_add_f16_e32 v144, v183, v161
	v_sub_f16_e32 v146, v163, v174
	v_add_f16_e32 v148, v159, v153
	v_sub_f16_e32 v149, v151, v40
	v_sub_f16_e32 v176, v155, v157
	v_add_f16_e32 v155, v157, v155
	v_sub_f16_e32 v153, v153, v159
	v_add_f16_e32 v40, v40, v151
	v_sub_f16_e32 v151, v161, v183
	v_add_f16_e32 v152, v152, v154
	v_add_f16_e32 v157, v158, v184
	v_add_f16_e32 v158, v164, v154
	;; [unrolled: 1-line block ×5, first 2 shown]
	v_fmamk_f16 v161, v169, 0xbcab, v33
	v_fmamk_f16 v162, v175, 0xbcab, v34
	v_add_f16_e32 v177, v38, v156
	v_sub_f16_e32 v38, v156, v38
	v_add_f16_e32 v156, v174, v163
	v_fmac_f16_e32 v42, 0x370e, v147
	v_fmac_f16_e32 v43, 0x370e, v150
	;; [unrolled: 1-line block ×6, first 2 shown]
	v_add_f16_e32 v150, v170, v152
	v_sub_f16_e32 v163, v157, v168
	v_sub_f16_e32 v165, v160, v171
	;; [unrolled: 1-line block ×3, first 2 shown]
	v_add_f16_e32 v174, v39, v159
	v_add_f16_e32 v158, v166, v158
	v_sub_f16_e32 v39, v159, v39
	v_add_f16_e32 v159, v171, v160
	v_pack_b32_f16 v160, v144, v146
	v_pack_b32_f16 v149, v148, v149
	v_add_f16_e32 v144, v36, v161
	v_add_f16_e32 v146, v37, v162
	;; [unrolled: 1-line block ×7, first 2 shown]
	v_pack_b32_f16 v166, v176, v177
	v_pack_b32_f16 v38, v155, v38
	v_sub_f16_e32 v154, v154, v173
	v_pack_b32_f16 v40, v153, v40
	v_sub_f16_e32 v152, v152, v170
	v_add_f16_e32 v157, v168, v157
	v_pack_b32_f16 v151, v151, v156
	ds_write_b32 v82, v160 offset:1152
	ds_write_b32 v82, v149 offset:2304
	;; [unrolled: 1-line block ×6, first 2 shown]
	ds_write2_b32 v55, v172, v35 offset1:112
	v_pack_b32_f16 v149, v150, v163
	v_pack_b32_f16 v153, v158, v39
	v_add_f16_e32 v35, v41, v47
	v_sub_f16_e32 v37, v147, v44
	v_sub_f16_e32 v36, v145, v45
	v_add_f16_e32 v38, v46, v148
	v_sub_f16_e32 v39, v144, v43
	v_add_f16_e32 v40, v42, v146
	v_pack_b32_f16 v150, v164, v165
	v_pack_b32_f16 v151, v169, v174
	;; [unrolled: 1-line block ×4, first 2 shown]
	ds_write_b32 v82, v149 offset:1600
	ds_write_b32 v82, v150 offset:2752
	;; [unrolled: 1-line block ×6, first 2 shown]
	s_and_saveexec_b32 s0, vcc_lo
	s_cbranch_execz .LBB0_5
; %bb.4:
	v_sub_f16_e32 v42, v146, v42
	v_add_f16_e32 v43, v43, v144
	v_sub_f16_e32 v46, v148, v46
	v_perm_b32 v33, v34, v33, 0x5040100
	v_add_f16_e32 v34, v45, v145
	v_add_f16_e32 v44, v44, v147
	v_sub_f16_e32 v41, v47, v41
	v_pack_b32_f16 v42, v43, v42
	ds_write_b32 v55, v33 offset:896
	v_pack_b32_f16 v33, v34, v46
	v_perm_b32 v43, v40, v39, 0x5040100
	v_pack_b32_f16 v34, v41, v44
	v_perm_b32 v41, v37, v35, 0x5040100
	ds_write_b32 v82, v42 offset:2048
	v_perm_b32 v42, v38, v36, 0x5040100
	ds_write_b32 v82, v33 offset:3200
	ds_write_b32 v82, v34 offset:4352
	;; [unrolled: 1-line block ×5, first 2 shown]
.LBB0_5:
	s_or_b32 exec_lo, exec_lo, s0
	v_lshlrev_b32_e32 v33, 2, v65
	s_add_u32 s0, s12, 0x1f80
	s_addc_u32 s1, s13, 0
	s_waitcnt lgkmcnt(0)
	s_barrier
	buffer_gl0_inv
	s_clause 0x6
	global_load_dword v47, v71, s[0:1]
	global_load_dword v160, v70, s[0:1]
	global_load_dword v161, v33, s[0:1]
	global_load_dword v162, v33, s[0:1] offset:448
	global_load_dword v163, v33, s[0:1] offset:896
	;; [unrolled: 1-line block ×4, first 2 shown]
	v_add_co_u32 v43, s0, s0, v33
	v_add_co_ci_u32_e64 v44, null, s1, 0, s0
	v_add_nc_u32_e32 v45, 0x1400, v55
	v_add_co_u32 v33, s0, 0x800, v43
	v_add_co_u32 v41, s1, 0x1000, v43
	v_add_co_ci_u32_e64 v34, s0, 0, v44, s0
	v_add_co_ci_u32_e64 v42, s0, 0, v44, s1
	v_add_co_u32 v43, s0, 0x1800, v43
	s_clause 0x3
	global_load_dword v166, v[33:34], off offset:1984
	global_load_dword v167, v[41:42], off offset:384
	;; [unrolled: 1-line block ×4, first 2 shown]
	v_add_co_ci_u32_e64 v44, s0, 0, v44, s0
	s_clause 0x6
	global_load_dword v170, v[41:42], off offset:1728
	global_load_dword v171, v[33:34], off offset:192
	;; [unrolled: 1-line block ×7, first 2 shown]
	v_add_nc_u32_e32 v41, 0xc00, v55
	v_add_nc_u32_e32 v42, 0x1000, v55
	;; [unrolled: 1-line block ×6, first 2 shown]
	ds_read2_b32 v[70:71], v55 offset1:112
	v_add_nc_u32_e32 v34, 0x1c00, v55
	ds_read2_b32 v[144:145], v41 offset0:128 offset1:240
	ds_read2_b32 v[146:147], v42 offset0:96 offset1:208
	;; [unrolled: 1-line block ×7, first 2 shown]
	ds_read2_b32 v[158:159], v34 offset1:112
	s_waitcnt lgkmcnt(4)
	v_lshrrev_b32_e32 v184, 16, v150
	v_lshrrev_b32_e32 v177, 16, v70
	;; [unrolled: 1-line block ×5, first 2 shown]
	s_waitcnt lgkmcnt(0)
	v_lshrrev_b32_e32 v190, 16, v158
	v_lshrrev_b32_e32 v192, 16, v144
	;; [unrolled: 1-line block ×13, first 2 shown]
	s_waitcnt vmcnt(17)
	v_mul_f16_sdwa v195, v190, v47 dst_sel:DWORD dst_unused:UNUSED_PAD src0_sel:DWORD src1_sel:WORD_1
	v_mul_f16_sdwa v196, v158, v47 dst_sel:DWORD dst_unused:UNUSED_PAD src0_sel:DWORD src1_sel:WORD_1
	s_waitcnt vmcnt(15)
	v_mul_f16_sdwa v199, v177, v161 dst_sel:DWORD dst_unused:UNUSED_PAD src0_sel:DWORD src1_sel:WORD_1
	v_mul_f16_sdwa v200, v70, v161 dst_sel:DWORD dst_unused:UNUSED_PAD src0_sel:DWORD src1_sel:WORD_1
	;; [unrolled: 3-line block ×3, first 2 shown]
	v_mul_f16_sdwa v197, v192, v160 dst_sel:DWORD dst_unused:UNUSED_PAD src0_sel:DWORD src1_sel:WORD_1
	s_waitcnt vmcnt(13)
	v_mul_f16_sdwa v203, v181, v163 dst_sel:DWORD dst_unused:UNUSED_PAD src0_sel:DWORD src1_sel:WORD_1
	v_mul_f16_sdwa v204, v148, v163 dst_sel:DWORD dst_unused:UNUSED_PAD src0_sel:DWORD src1_sel:WORD_1
	s_waitcnt vmcnt(12)
	v_mul_f16_sdwa v205, v183, v164 dst_sel:DWORD dst_unused:UNUSED_PAD src0_sel:DWORD src1_sel:WORD_1
	v_mul_f16_sdwa v206, v149, v164 dst_sel:DWORD dst_unused:UNUSED_PAD src0_sel:DWORD src1_sel:WORD_1
	;; [unrolled: 1-line block ×3, first 2 shown]
	v_fma_f16 v70, v70, v161, -v199
	v_fmac_f16_e32 v200, v177, v161
	v_fma_f16 v71, v71, v162, -v201
	v_fmac_f16_e32 v202, v178, v162
	s_waitcnt vmcnt(11)
	v_mul_f16_sdwa v207, v185, v165 dst_sel:DWORD dst_unused:UNUSED_PAD src0_sel:DWORD src1_sel:WORD_1
	v_mul_f16_sdwa v208, v152, v165 dst_sel:DWORD dst_unused:UNUSED_PAD src0_sel:DWORD src1_sel:WORD_1
	v_fma_f16 v158, v158, v47, -v195
	v_fmac_f16_e32 v196, v190, v47
	v_fma_f16 v47, v144, v160, -v197
	v_fma_f16 v144, v148, v163, -v203
	v_fmac_f16_e32 v204, v181, v163
	v_fma_f16 v148, v149, v164, -v205
	v_fmac_f16_e32 v206, v183, v164
	v_fmac_f16_e32 v198, v192, v160
	v_pack_b32_f16 v70, v70, v200
	v_pack_b32_f16 v71, v71, v202
	s_waitcnt vmcnt(9)
	v_mul_f16_sdwa v161, v180, v167 dst_sel:DWORD dst_unused:UNUSED_PAD src0_sel:DWORD src1_sel:WORD_1
	v_mul_f16_sdwa v162, v146, v167 dst_sel:DWORD dst_unused:UNUSED_PAD src0_sel:DWORD src1_sel:WORD_1
	s_waitcnt vmcnt(8)
	v_mul_f16_sdwa v163, v182, v168 dst_sel:DWORD dst_unused:UNUSED_PAD src0_sel:DWORD src1_sel:WORD_1
	v_mul_f16_sdwa v164, v147, v168 dst_sel:DWORD dst_unused:UNUSED_PAD src0_sel:DWORD src1_sel:WORD_1
	v_fma_f16 v149, v152, v165, -v207
	v_fmac_f16_e32 v208, v185, v165
	v_pack_b32_f16 v152, v158, v196
	v_pack_b32_f16 v144, v144, v204
	;; [unrolled: 1-line block ×3, first 2 shown]
	v_mul_f16_sdwa v158, v179, v166 dst_sel:DWORD dst_unused:UNUSED_PAD src0_sel:DWORD src1_sel:WORD_1
	s_waitcnt vmcnt(7)
	v_mul_f16_sdwa v165, v184, v169 dst_sel:DWORD dst_unused:UNUSED_PAD src0_sel:DWORD src1_sel:WORD_1
	v_mul_f16_sdwa v177, v150, v169 dst_sel:DWORD dst_unused:UNUSED_PAD src0_sel:DWORD src1_sel:WORD_1
	s_waitcnt vmcnt(6)
	v_mul_f16_sdwa v178, v186, v170 dst_sel:DWORD dst_unused:UNUSED_PAD src0_sel:DWORD src1_sel:WORD_1
	v_mul_f16_sdwa v181, v151, v170 dst_sel:DWORD dst_unused:UNUSED_PAD src0_sel:DWORD src1_sel:WORD_1
	s_waitcnt vmcnt(5)
	v_mul_f16_sdwa v183, v187, v171 dst_sel:DWORD dst_unused:UNUSED_PAD src0_sel:DWORD src1_sel:WORD_1
	v_mul_f16_sdwa v185, v153, v171 dst_sel:DWORD dst_unused:UNUSED_PAD src0_sel:DWORD src1_sel:WORD_1
	v_pack_b32_f16 v47, v47, v198
	s_waitcnt vmcnt(4)
	v_mul_f16_sdwa v190, v188, v172 dst_sel:DWORD dst_unused:UNUSED_PAD src0_sel:DWORD src1_sel:WORD_1
	v_mul_f16_sdwa v192, v154, v172 dst_sel:DWORD dst_unused:UNUSED_PAD src0_sel:DWORD src1_sel:WORD_1
	s_waitcnt vmcnt(2)
	v_mul_f16_sdwa v197, v191, v174 dst_sel:DWORD dst_unused:UNUSED_PAD src0_sel:DWORD src1_sel:WORD_1
	v_mul_f16_sdwa v198, v155, v174 dst_sel:DWORD dst_unused:UNUSED_PAD src0_sel:DWORD src1_sel:WORD_1
	;; [unrolled: 1-line block ×5, first 2 shown]
	s_waitcnt vmcnt(1)
	v_mul_f16_sdwa v199, v193, v175 dst_sel:DWORD dst_unused:UNUSED_PAD src0_sel:DWORD src1_sel:WORD_1
	v_mul_f16_sdwa v200, v157, v175 dst_sel:DWORD dst_unused:UNUSED_PAD src0_sel:DWORD src1_sel:WORD_1
	s_waitcnt vmcnt(0)
	v_mul_f16_sdwa v201, v194, v176 dst_sel:DWORD dst_unused:UNUSED_PAD src0_sel:DWORD src1_sel:WORD_1
	v_mul_f16_sdwa v202, v159, v176 dst_sel:DWORD dst_unused:UNUSED_PAD src0_sel:DWORD src1_sel:WORD_1
	ds_write2_b32 v55, v70, v71 offset1:112
	ds_write2_b32 v44, v144, v148 offset0:96 offset1:208
	v_fma_f16 v71, v146, v167, -v161
	v_fmac_f16_e32 v162, v180, v167
	v_fma_f16 v144, v147, v168, -v163
	v_fmac_f16_e32 v164, v182, v168
	v_fma_f16 v70, v145, v166, -v158
	v_fma_f16 v145, v150, v169, -v165
	v_fmac_f16_e32 v177, v184, v169
	v_fma_f16 v146, v151, v170, -v178
	v_fmac_f16_e32 v181, v186, v170
	v_fma_f16 v147, v153, v171, -v183
	v_fmac_f16_e32 v185, v187, v171
	v_fma_f16 v148, v154, v172, -v190
	v_fmac_f16_e32 v192, v188, v172
	v_fma_f16 v151, v155, v174, -v197
	v_fmac_f16_e32 v198, v191, v174
	v_fmac_f16_e32 v160, v179, v166
	v_fma_f16 v150, v156, v173, -v195
	v_fmac_f16_e32 v196, v189, v173
	v_fma_f16 v153, v157, v175, -v199
	;; [unrolled: 2-line block ×3, first 2 shown]
	v_fmac_f16_e32 v202, v194, v176
	v_pack_b32_f16 v71, v71, v162
	v_pack_b32_f16 v144, v144, v164
	;; [unrolled: 1-line block ×12, first 2 shown]
	ds_write2_b32 v42, v71, v144 offset0:96 offset1:208
	ds_write2_b32 v45, v145, v146 offset0:64 offset1:176
	;; [unrolled: 1-line block ×6, first 2 shown]
	ds_write2_b32 v34, v152, v154 offset1:112
	s_waitcnt lgkmcnt(0)
	s_barrier
	buffer_gl0_inv
	ds_read2_b32 v[70:71], v55 offset1:112
	ds_read2_b32 v[144:145], v41 offset0:128 offset1:240
	ds_read2_b32 v[146:147], v42 offset0:96 offset1:208
	;; [unrolled: 1-line block ×7, first 2 shown]
	ds_read2_b32 v[158:159], v34 offset1:112
	s_waitcnt lgkmcnt(0)
	s_barrier
	buffer_gl0_inv
	v_pk_add_f16 v160, v70, v145 neg_lo:[0,1] neg_hi:[0,1]
	v_pk_add_f16 v146, v71, v146 neg_lo:[0,1] neg_hi:[0,1]
	;; [unrolled: 1-line block ×9, first 2 shown]
	v_pk_fma_f16 v159, v70, 2.0, v160 op_sel_hi:[1,0,1] neg_lo:[0,0,1] neg_hi:[0,0,1]
	v_pk_fma_f16 v145, v71, 2.0, v146 op_sel_hi:[1,0,1] neg_lo:[0,0,1] neg_hi:[0,0,1]
	;; [unrolled: 1-line block ×9, first 2 shown]
	ds_write_b64 v72, v[159:160]
	ds_write_b64 v75, v[145:146]
	;; [unrolled: 1-line block ×9, first 2 shown]
	s_waitcnt lgkmcnt(0)
	s_barrier
	buffer_gl0_inv
	ds_read2_b32 v[70:71], v55 offset1:112
	ds_read2_b32 v[74:75], v41 offset0:128 offset1:240
	ds_read2_b32 v[76:77], v42 offset0:96 offset1:208
	;; [unrolled: 1-line block ×7, first 2 shown]
	ds_read2_b32 v[150:151], v34 offset1:112
	s_waitcnt lgkmcnt(0)
	s_barrier
	buffer_gl0_inv
	v_lshrrev_b32_e32 v47, 16, v70
	v_lshrrev_b32_e32 v72, 16, v75
	;; [unrolled: 1-line block ×3, first 2 shown]
	v_mul_f16_sdwa v168, v73, v75 dst_sel:DWORD dst_unused:UNUSED_PAD src0_sel:WORD_1 src1_sel:DWORD
	v_lshrrev_b32_e32 v155, 16, v77
	v_mul_f16_sdwa v169, v73, v76 dst_sel:DWORD dst_unused:UNUSED_PAD src0_sel:WORD_1 src1_sel:DWORD
	v_lshrrev_b32_e32 v157, 16, v80
	;; [unrolled: 2-line block ×3, first 2 shown]
	v_lshrrev_b32_e32 v161, 16, v146
	v_lshrrev_b32_e32 v163, 16, v147
	v_lshrrev_b32_e32 v165, 16, v150
	v_lshrrev_b32_e32 v167, 16, v151
	v_mul_f16_sdwa v171, v73, v80 dst_sel:DWORD dst_unused:UNUSED_PAD src0_sel:WORD_1 src1_sel:DWORD
	v_mul_f16_sdwa v172, v73, v81 dst_sel:DWORD dst_unused:UNUSED_PAD src0_sel:WORD_1 src1_sel:DWORD
	;; [unrolled: 1-line block ×6, first 2 shown]
	v_fma_f16 v72, v73, v72, -v168
	v_mul_f16_sdwa v168, v73, v153 dst_sel:DWORD dst_unused:UNUSED_PAD src0_sel:WORD_1 src1_sel:DWORD
	v_fma_f16 v153, v73, v153, -v169
	v_mul_f16_sdwa v169, v73, v155 dst_sel:DWORD dst_unused:UNUSED_PAD src0_sel:WORD_1 src1_sel:DWORD
	;; [unrolled: 2-line block ×3, first 2 shown]
	v_mul_f16_sdwa v176, v73, v151 dst_sel:DWORD dst_unused:UNUSED_PAD src0_sel:WORD_1 src1_sel:DWORD
	v_fma_f16 v157, v73, v157, -v171
	v_mul_f16_sdwa v171, v73, v159 dst_sel:DWORD dst_unused:UNUSED_PAD src0_sel:WORD_1 src1_sel:DWORD
	v_fma_f16 v159, v73, v159, -v172
	;; [unrolled: 2-line block ×5, first 2 shown]
	v_mul_f16_sdwa v175, v73, v167 dst_sel:DWORD dst_unused:UNUSED_PAD src0_sel:WORD_1 src1_sel:DWORD
	v_fmac_f16_e32 v177, v73, v75
	v_lshrrev_b32_e32 v152, 16, v71
	v_fmac_f16_e32 v168, v73, v76
	v_lshrrev_b32_e32 v154, 16, v78
	v_fmac_f16_e32 v169, v73, v77
	v_lshrrev_b32_e32 v156, 16, v79
	v_fmac_f16_e32 v170, v73, v80
	v_lshrrev_b32_e32 v158, 16, v144
	v_lshrrev_b32_e32 v164, 16, v149
	v_lshrrev_b32_e32 v166, 16, v74
	v_fma_f16 v167, v73, v167, -v176
	v_fmac_f16_e32 v171, v73, v81
	v_fmac_f16_e32 v175, v73, v151
	v_lshrrev_b32_e32 v160, 16, v145
	v_lshrrev_b32_e32 v162, 16, v148
	v_fmac_f16_e32 v172, v73, v146
	v_fmac_f16_e32 v173, v73, v147
	;; [unrolled: 1-line block ×3, first 2 shown]
	v_sub_f16_e32 v72, v47, v72
	v_sub_f16_e32 v150, v70, v177
	;; [unrolled: 1-line block ×15, first 2 shown]
	v_fma_f16 v47, v47, 2.0, -v72
	v_sub_f16_e32 v159, v145, v172
	v_sub_f16_e32 v161, v148, v173
	;; [unrolled: 1-line block ×3, first 2 shown]
	v_fma_f16 v70, v70, 2.0, -v150
	v_fma_f16 v152, v152, 2.0, -v73
	;; [unrolled: 1-line block ×17, first 2 shown]
	v_pack_b32_f16 v72, v150, v72
	v_pack_b32_f16 v47, v70, v47
	;; [unrolled: 1-line block ×18, first 2 shown]
	ds_write2_b32 v84, v47, v72 offset1:2
	ds_write2_b32 v85, v70, v73 offset1:2
	;; [unrolled: 1-line block ×9, first 2 shown]
	s_waitcnt lgkmcnt(0)
	s_barrier
	buffer_gl0_inv
	ds_read2_b32 v[70:71], v55 offset1:112
	ds_read2_b32 v[72:73], v41 offset0:128 offset1:240
	ds_read2_b32 v[74:75], v42 offset0:96 offset1:208
	;; [unrolled: 1-line block ×7, first 2 shown]
	ds_read2_b32 v[88:89], v34 offset1:112
	s_waitcnt lgkmcnt(0)
	s_barrier
	buffer_gl0_inv
	v_lshrrev_b32_e32 v47, 16, v70
	v_lshrrev_b32_e32 v90, 16, v73
	;; [unrolled: 1-line block ×3, first 2 shown]
	v_mul_f16_sdwa v158, v83, v73 dst_sel:DWORD dst_unused:UNUSED_PAD src0_sel:WORD_1 src1_sel:DWORD
	v_lshrrev_b32_e32 v145, 16, v75
	v_mul_f16_sdwa v159, v83, v74 dst_sel:DWORD dst_unused:UNUSED_PAD src0_sel:WORD_1 src1_sel:DWORD
	v_lshrrev_b32_e32 v147, 16, v78
	;; [unrolled: 2-line block ×3, first 2 shown]
	v_lshrrev_b32_e32 v151, 16, v84
	v_lshrrev_b32_e32 v153, 16, v85
	;; [unrolled: 1-line block ×4, first 2 shown]
	v_mul_f16_sdwa v161, v83, v78 dst_sel:DWORD dst_unused:UNUSED_PAD src0_sel:WORD_1 src1_sel:DWORD
	v_mul_f16_sdwa v162, v83, v79 dst_sel:DWORD dst_unused:UNUSED_PAD src0_sel:WORD_1 src1_sel:DWORD
	v_mul_f16_sdwa v163, v83, v84 dst_sel:DWORD dst_unused:UNUSED_PAD src0_sel:WORD_1 src1_sel:DWORD
	v_mul_f16_sdwa v164, v83, v85 dst_sel:DWORD dst_unused:UNUSED_PAD src0_sel:WORD_1 src1_sel:DWORD
	v_mul_f16_sdwa v165, v83, v88 dst_sel:DWORD dst_unused:UNUSED_PAD src0_sel:WORD_1 src1_sel:DWORD
	v_mul_f16_sdwa v167, v83, v90 dst_sel:DWORD dst_unused:UNUSED_PAD src0_sel:WORD_1 src1_sel:DWORD
	v_fma_f16 v90, v83, v90, -v158
	v_mul_f16_sdwa v158, v83, v92 dst_sel:DWORD dst_unused:UNUSED_PAD src0_sel:WORD_1 src1_sel:DWORD
	v_fma_f16 v92, v83, v92, -v159
	v_mul_f16_sdwa v159, v83, v145 dst_sel:DWORD dst_unused:UNUSED_PAD src0_sel:WORD_1 src1_sel:DWORD
	;; [unrolled: 2-line block ×3, first 2 shown]
	v_mul_f16_sdwa v166, v83, v89 dst_sel:DWORD dst_unused:UNUSED_PAD src0_sel:WORD_1 src1_sel:DWORD
	v_fma_f16 v147, v83, v147, -v161
	v_mul_f16_sdwa v161, v83, v149 dst_sel:DWORD dst_unused:UNUSED_PAD src0_sel:WORD_1 src1_sel:DWORD
	v_fma_f16 v149, v83, v149, -v162
	;; [unrolled: 2-line block ×5, first 2 shown]
	v_mul_f16_sdwa v165, v83, v157 dst_sel:DWORD dst_unused:UNUSED_PAD src0_sel:WORD_1 src1_sel:DWORD
	v_fmac_f16_e32 v167, v83, v73
	v_lshrrev_b32_e32 v91, 16, v71
	v_fmac_f16_e32 v158, v83, v74
	v_lshrrev_b32_e32 v144, 16, v76
	;; [unrolled: 2-line block ×4, first 2 shown]
	v_lshrrev_b32_e32 v150, 16, v81
	v_lshrrev_b32_e32 v152, 16, v86
	;; [unrolled: 1-line block ×4, first 2 shown]
	v_fma_f16 v157, v83, v157, -v166
	v_fmac_f16_e32 v161, v83, v79
	v_fmac_f16_e32 v162, v83, v84
	;; [unrolled: 1-line block ×5, first 2 shown]
	v_sub_f16_e32 v73, v47, v90
	v_sub_f16_e32 v89, v70, v167
	;; [unrolled: 1-line block ×18, first 2 shown]
	v_fma_f16 v47, v47, 2.0, -v73
	v_fma_f16 v70, v70, 2.0, -v89
	;; [unrolled: 1-line block ×18, first 2 shown]
	v_pack_b32_f16 v73, v89, v73
	v_pack_b32_f16 v47, v70, v47
	;; [unrolled: 1-line block ×18, first 2 shown]
	ds_write2_b32 v93, v47, v73 offset1:4
	ds_write2_b32 v94, v70, v74 offset1:4
	;; [unrolled: 1-line block ×9, first 2 shown]
	s_waitcnt lgkmcnt(0)
	s_barrier
	buffer_gl0_inv
	ds_read2_b32 v[70:71], v55 offset1:112
	ds_read2_b32 v[72:73], v41 offset0:128 offset1:240
	ds_read2_b32 v[74:75], v42 offset0:96 offset1:208
	;; [unrolled: 1-line block ×7, first 2 shown]
	ds_read2_b32 v[87:88], v34 offset1:112
	s_waitcnt lgkmcnt(0)
	s_barrier
	buffer_gl0_inv
	v_lshrrev_b32_e32 v47, 16, v70
	v_lshrrev_b32_e32 v89, 16, v73
	v_lshrrev_b32_e32 v91, 16, v74
	v_lshrrev_b32_e32 v93, 16, v75
	v_mul_f16_sdwa v149, v100, v73 dst_sel:DWORD dst_unused:UNUSED_PAD src0_sel:WORD_1 src1_sel:DWORD
	v_lshrrev_b32_e32 v95, 16, v78
	v_mul_f16_sdwa v145, v100, v89 dst_sel:DWORD dst_unused:UNUSED_PAD src0_sel:WORD_1 src1_sel:DWORD
	v_mul_f16_sdwa v150, v100, v74 dst_sel:DWORD dst_unused:UNUSED_PAD src0_sel:WORD_1 src1_sel:DWORD
	;; [unrolled: 1-line block ×3, first 2 shown]
	v_fma_f16 v89, v100, v89, -v149
	v_mul_f16_sdwa v149, v100, v75 dst_sel:DWORD dst_unused:UNUSED_PAD src0_sel:WORD_1 src1_sel:DWORD
	v_fmac_f16_e32 v145, v100, v73
	v_mul_f16_sdwa v73, v100, v91 dst_sel:DWORD dst_unused:UNUSED_PAD src0_sel:WORD_1 src1_sel:DWORD
	v_lshrrev_b32_e32 v97, 16, v79
	v_lshrrev_b32_e32 v99, 16, v83
	v_fmac_f16_e32 v151, v100, v75
	v_mul_f16_sdwa v75, v100, v95 dst_sel:DWORD dst_unused:UNUSED_PAD src0_sel:WORD_1 src1_sel:DWORD
	v_fmac_f16_e32 v73, v100, v74
	v_fma_f16 v74, v100, v91, -v150
	v_fma_f16 v91, v100, v93, -v149
	v_mul_f16_sdwa v93, v100, v78 dst_sel:DWORD dst_unused:UNUSED_PAD src0_sel:WORD_1 src1_sel:DWORD
	v_lshrrev_b32_e32 v102, 16, v84
	v_lshrrev_b32_e32 v146, 16, v87
	v_mul_f16_sdwa v149, v100, v97 dst_sel:DWORD dst_unused:UNUSED_PAD src0_sel:WORD_1 src1_sel:DWORD
	v_mul_f16_sdwa v150, v100, v79 dst_sel:DWORD dst_unused:UNUSED_PAD src0_sel:WORD_1 src1_sel:DWORD
	v_fmac_f16_e32 v75, v100, v78
	v_mul_f16_sdwa v78, v100, v99 dst_sel:DWORD dst_unused:UNUSED_PAD src0_sel:WORD_1 src1_sel:DWORD
	v_fma_f16 v93, v100, v95, -v93
	v_mul_f16_sdwa v95, v100, v83 dst_sel:DWORD dst_unused:UNUSED_PAD src0_sel:WORD_1 src1_sel:DWORD
	v_lshrrev_b32_e32 v148, 16, v88
	v_fmac_f16_e32 v149, v100, v79
	v_fma_f16 v79, v100, v97, -v150
	v_fmac_f16_e32 v78, v100, v83
	v_mul_f16_sdwa v83, v100, v102 dst_sel:DWORD dst_unused:UNUSED_PAD src0_sel:WORD_1 src1_sel:DWORD
	v_mul_f16_sdwa v97, v100, v84 dst_sel:DWORD dst_unused:UNUSED_PAD src0_sel:WORD_1 src1_sel:DWORD
	;; [unrolled: 1-line block ×3, first 2 shown]
	v_fma_f16 v95, v100, v99, -v95
	v_mul_f16_sdwa v99, v100, v87 dst_sel:DWORD dst_unused:UNUSED_PAD src0_sel:WORD_1 src1_sel:DWORD
	v_lshrrev_b32_e32 v90, 16, v71
	v_lshrrev_b32_e32 v92, 16, v76
	v_fmac_f16_e32 v83, v100, v84
	v_fma_f16 v84, v100, v102, -v97
	v_fmac_f16_e32 v150, v100, v87
	v_mul_f16_sdwa v87, v100, v148 dst_sel:DWORD dst_unused:UNUSED_PAD src0_sel:WORD_1 src1_sel:DWORD
	v_fma_f16 v97, v100, v146, -v99
	v_mul_f16_sdwa v99, v100, v88 dst_sel:DWORD dst_unused:UNUSED_PAD src0_sel:WORD_1 src1_sel:DWORD
	v_lshrrev_b32_e32 v94, 16, v77
	v_lshrrev_b32_e32 v96, 16, v80
	v_sub_f16_e32 v102, v70, v145
	v_sub_f16_e32 v89, v47, v89
	v_lshrrev_b32_e32 v98, 16, v81
	v_sub_f16_e32 v73, v71, v73
	v_sub_f16_e32 v74, v90, v74
	v_lshrrev_b32_e32 v101, 16, v85
	v_fmac_f16_e32 v87, v100, v88
	v_fma_f16 v88, v100, v148, -v99
	v_sub_f16_e32 v99, v76, v151
	v_sub_f16_e32 v91, v92, v91
	v_lshrrev_b32_e32 v144, 16, v86
	v_sub_f16_e32 v75, v77, v75
	v_sub_f16_e32 v93, v94, v93
	v_lshrrev_b32_e32 v147, 16, v72
	v_fma_f16 v70, v70, 2.0, -v102
	v_fma_f16 v47, v47, 2.0, -v89
	v_sub_f16_e32 v100, v80, v149
	v_sub_f16_e32 v79, v96, v79
	v_fma_f16 v71, v71, 2.0, -v73
	v_fma_f16 v90, v90, 2.0, -v74
	v_sub_f16_e32 v78, v81, v78
	v_sub_f16_e32 v95, v98, v95
	;; [unrolled: 4-line block ×4, first 2 shown]
	v_sub_f16_e32 v87, v72, v87
	v_sub_f16_e32 v88, v147, v88
	v_fma_f16 v80, v80, 2.0, -v100
	v_fma_f16 v96, v96, 2.0, -v79
	v_pack_b32_f16 v47, v70, v47
	v_pack_b32_f16 v70, v102, v89
	v_fma_f16 v81, v81, 2.0, -v78
	v_fma_f16 v98, v98, 2.0, -v95
	v_pack_b32_f16 v71, v71, v90
	v_pack_b32_f16 v73, v73, v74
	v_fma_f16 v85, v85, 2.0, -v83
	v_fma_f16 v101, v101, 2.0, -v84
	v_pack_b32_f16 v74, v76, v92
	v_pack_b32_f16 v76, v99, v91
	v_fma_f16 v86, v86, 2.0, -v145
	v_fma_f16 v144, v144, 2.0, -v97
	v_pack_b32_f16 v77, v77, v94
	v_pack_b32_f16 v75, v75, v93
	v_fma_f16 v72, v72, 2.0, -v87
	v_fma_f16 v146, v147, 2.0, -v88
	ds_write2_b32 v104, v47, v70 offset1:8
	ds_write2_b32 v110, v71, v73 offset1:8
	;; [unrolled: 1-line block ×4, first 2 shown]
	v_pack_b32_f16 v47, v80, v96
	v_pack_b32_f16 v70, v100, v79
	;; [unrolled: 1-line block ×10, first 2 shown]
	ds_write2_b32 v103, v47, v70 offset1:8
	ds_write2_b32 v105, v71, v73 offset1:8
	ds_write2_b32 v106, v74, v75 offset1:8
	ds_write2_b32 v108, v76, v77 offset1:8
	ds_write2_b32 v109, v72, v78 offset1:8
	s_waitcnt lgkmcnt(0)
	s_barrier
	buffer_gl0_inv
	ds_read2_b32 v[70:71], v55 offset1:112
	ds_read2_b32 v[72:73], v41 offset0:128 offset1:240
	ds_read2_b32 v[74:75], v42 offset0:96 offset1:208
	;; [unrolled: 1-line block ×7, first 2 shown]
	ds_read2_b32 v[87:88], v34 offset1:112
	s_waitcnt lgkmcnt(0)
	s_barrier
	buffer_gl0_inv
	v_lshrrev_b32_e32 v47, 16, v70
	v_lshrrev_b32_e32 v89, 16, v73
	;; [unrolled: 1-line block ×4, first 2 shown]
	v_mul_f16_sdwa v108, v107, v73 dst_sel:DWORD dst_unused:UNUSED_PAD src0_sel:WORD_1 src1_sel:DWORD
	v_lshrrev_b32_e32 v95, 16, v78
	v_mul_f16_sdwa v103, v107, v89 dst_sel:DWORD dst_unused:UNUSED_PAD src0_sel:WORD_1 src1_sel:DWORD
	v_mul_f16_sdwa v109, v107, v74 dst_sel:DWORD dst_unused:UNUSED_PAD src0_sel:WORD_1 src1_sel:DWORD
	;; [unrolled: 1-line block ×3, first 2 shown]
	v_fma_f16 v89, v107, v89, -v108
	v_mul_f16_sdwa v108, v107, v75 dst_sel:DWORD dst_unused:UNUSED_PAD src0_sel:WORD_1 src1_sel:DWORD
	v_fmac_f16_e32 v103, v107, v73
	v_mul_f16_sdwa v73, v107, v91 dst_sel:DWORD dst_unused:UNUSED_PAD src0_sel:WORD_1 src1_sel:DWORD
	v_lshrrev_b32_e32 v97, 16, v79
	v_lshrrev_b32_e32 v99, 16, v83
	v_fmac_f16_e32 v110, v107, v75
	v_mul_f16_sdwa v75, v107, v95 dst_sel:DWORD dst_unused:UNUSED_PAD src0_sel:WORD_1 src1_sel:DWORD
	v_fmac_f16_e32 v73, v107, v74
	v_fma_f16 v74, v107, v91, -v109
	v_fma_f16 v91, v107, v93, -v108
	v_mul_f16_sdwa v93, v107, v78 dst_sel:DWORD dst_unused:UNUSED_PAD src0_sel:WORD_1 src1_sel:DWORD
	v_lshrrev_b32_e32 v101, 16, v84
	v_lshrrev_b32_e32 v104, 16, v87
	v_mul_f16_sdwa v108, v107, v97 dst_sel:DWORD dst_unused:UNUSED_PAD src0_sel:WORD_1 src1_sel:DWORD
	v_mul_f16_sdwa v109, v107, v79 dst_sel:DWORD dst_unused:UNUSED_PAD src0_sel:WORD_1 src1_sel:DWORD
	v_fmac_f16_e32 v75, v107, v78
	v_mul_f16_sdwa v78, v107, v99 dst_sel:DWORD dst_unused:UNUSED_PAD src0_sel:WORD_1 src1_sel:DWORD
	v_fma_f16 v93, v107, v95, -v93
	v_mul_f16_sdwa v95, v107, v83 dst_sel:DWORD dst_unused:UNUSED_PAD src0_sel:WORD_1 src1_sel:DWORD
	v_lshrrev_b32_e32 v106, 16, v88
	v_fmac_f16_e32 v108, v107, v79
	v_fma_f16 v79, v107, v97, -v109
	v_fmac_f16_e32 v78, v107, v83
	v_mul_f16_sdwa v83, v107, v101 dst_sel:DWORD dst_unused:UNUSED_PAD src0_sel:WORD_1 src1_sel:DWORD
	v_mul_f16_sdwa v97, v107, v84 dst_sel:DWORD dst_unused:UNUSED_PAD src0_sel:WORD_1 src1_sel:DWORD
	;; [unrolled: 1-line block ×3, first 2 shown]
	v_fma_f16 v95, v107, v99, -v95
	v_mul_f16_sdwa v99, v107, v87 dst_sel:DWORD dst_unused:UNUSED_PAD src0_sel:WORD_1 src1_sel:DWORD
	v_lshrrev_b32_e32 v90, 16, v71
	v_lshrrev_b32_e32 v92, 16, v76
	v_fmac_f16_e32 v83, v107, v84
	v_fma_f16 v84, v107, v101, -v97
	v_fmac_f16_e32 v109, v107, v87
	v_mul_f16_sdwa v87, v107, v106 dst_sel:DWORD dst_unused:UNUSED_PAD src0_sel:WORD_1 src1_sel:DWORD
	v_fma_f16 v97, v107, v104, -v99
	v_mul_f16_sdwa v99, v107, v88 dst_sel:DWORD dst_unused:UNUSED_PAD src0_sel:WORD_1 src1_sel:DWORD
	v_lshrrev_b32_e32 v94, 16, v77
	v_lshrrev_b32_e32 v96, 16, v80
	v_sub_f16_e32 v101, v70, v103
	v_sub_f16_e32 v89, v47, v89
	v_lshrrev_b32_e32 v98, 16, v81
	v_sub_f16_e32 v73, v71, v73
	v_sub_f16_e32 v74, v90, v74
	v_lshrrev_b32_e32 v100, 16, v85
	v_fmac_f16_e32 v87, v107, v88
	v_fma_f16 v88, v107, v106, -v99
	v_sub_f16_e32 v99, v76, v110
	v_sub_f16_e32 v91, v92, v91
	v_lshrrev_b32_e32 v102, 16, v86
	v_sub_f16_e32 v75, v77, v75
	v_sub_f16_e32 v93, v94, v93
	v_lshrrev_b32_e32 v105, 16, v72
	v_fma_f16 v70, v70, 2.0, -v101
	v_fma_f16 v47, v47, 2.0, -v89
	v_sub_f16_e32 v103, v80, v108
	v_sub_f16_e32 v79, v96, v79
	v_fma_f16 v71, v71, 2.0, -v73
	v_fma_f16 v90, v90, 2.0, -v74
	v_sub_f16_e32 v78, v81, v78
	v_sub_f16_e32 v95, v98, v95
	;; [unrolled: 4-line block ×4, first 2 shown]
	v_sub_f16_e32 v87, v72, v87
	v_sub_f16_e32 v88, v105, v88
	v_fma_f16 v80, v80, 2.0, -v103
	v_fma_f16 v96, v96, 2.0, -v79
	v_pack_b32_f16 v47, v70, v47
	v_pack_b32_f16 v70, v101, v89
	v_fma_f16 v81, v81, 2.0, -v78
	v_fma_f16 v98, v98, 2.0, -v95
	v_pack_b32_f16 v71, v71, v90
	v_pack_b32_f16 v73, v73, v74
	;; [unrolled: 4-line block ×4, first 2 shown]
	v_fma_f16 v72, v72, 2.0, -v87
	v_fma_f16 v105, v105, 2.0, -v88
	ds_write2_b32 v116, v47, v70 offset1:16
	ds_write2_b32 v123, v71, v73 offset1:16
	;; [unrolled: 1-line block ×4, first 2 shown]
	v_pack_b32_f16 v47, v80, v96
	v_pack_b32_f16 v70, v103, v79
	;; [unrolled: 1-line block ×10, first 2 shown]
	ds_write2_b32 v117, v47, v70 offset1:16
	ds_write2_b32 v118, v71, v73 offset1:16
	;; [unrolled: 1-line block ×5, first 2 shown]
	s_waitcnt lgkmcnt(0)
	s_barrier
	buffer_gl0_inv
	ds_read2_b32 v[70:71], v55 offset1:112
	ds_read2_b32 v[72:73], v46 offset0:32 offset1:144
	ds_read2_b32 v[74:75], v45 offset0:64 offset1:176
	;; [unrolled: 1-line block ×7, first 2 shown]
	ds_read2_b32 v[87:88], v34 offset1:112
	s_waitcnt lgkmcnt(0)
	s_barrier
	buffer_gl0_inv
	v_lshrrev_b32_e32 v47, 16, v70
	v_lshrrev_b32_e32 v89, 16, v72
	;; [unrolled: 1-line block ×4, first 2 shown]
	v_mul_f16_sdwa v106, v13, v72 dst_sel:DWORD dst_unused:UNUSED_PAD src0_sel:WORD_1 src1_sel:DWORD
	v_lshrrev_b32_e32 v93, 16, v75
	v_mul_f16_sdwa v104, v13, v89 dst_sel:DWORD dst_unused:UNUSED_PAD src0_sel:WORD_1 src1_sel:DWORD
	v_mul_f16_sdwa v108, v14, v90 dst_sel:DWORD dst_unused:UNUSED_PAD src0_sel:WORD_1 src1_sel:DWORD
	v_lshrrev_b32_e32 v95, 16, v78
	v_fma_f16 v89, v13, v89, -v106
	v_mul_f16_sdwa v106, v114, v92 dst_sel:DWORD dst_unused:UNUSED_PAD src0_sel:WORD_1 src1_sel:DWORD
	v_fmac_f16_e32 v104, v13, v72
	v_mul_f16_sdwa v72, v14, v74 dst_sel:DWORD dst_unused:UNUSED_PAD src0_sel:WORD_1 src1_sel:DWORD
	v_lshrrev_b32_e32 v96, 16, v80
	v_fmac_f16_e32 v108, v14, v74
	v_mul_f16_sdwa v74, v114, v73 dst_sel:DWORD dst_unused:UNUSED_PAD src0_sel:WORD_1 src1_sel:DWORD
	v_fmac_f16_e32 v106, v130, v73
	v_fma_f16 v72, v14, v90, -v72
	v_mul_f16_sdwa v90, v113, v93 dst_sel:DWORD dst_unused:UNUSED_PAD src0_sel:WORD_1 src1_sel:DWORD
	v_mul_f16_sdwa v73, v113, v75 dst_sel:DWORD dst_unused:UNUSED_PAD src0_sel:WORD_1 src1_sel:DWORD
	v_lshrrev_b32_e32 v98, 16, v79
	v_fma_f16 v74, v130, v92, -v74
	v_mul_f16_sdwa v92, v13, v95 dst_sel:DWORD dst_unused:UNUSED_PAD src0_sel:WORD_1 src1_sel:DWORD
	v_fmac_f16_e32 v90, v143, v75
	v_mul_f16_sdwa v75, v13, v78 dst_sel:DWORD dst_unused:UNUSED_PAD src0_sel:WORD_1 src1_sel:DWORD
	v_fma_f16 v73, v143, v93, -v73
	v_mul_f16_sdwa v93, v14, v96 dst_sel:DWORD dst_unused:UNUSED_PAD src0_sel:WORD_1 src1_sel:DWORD
	v_lshrrev_b32_e32 v99, 16, v81
	v_lshrrev_b32_e32 v101, 16, v85
	v_fmac_f16_e32 v92, v13, v78
	v_mul_f16_sdwa v78, v14, v80 dst_sel:DWORD dst_unused:UNUSED_PAD src0_sel:WORD_1 src1_sel:DWORD
	v_fma_f16 v75, v13, v95, -v75
	v_mul_f16_e32 v95, v129, v98
	v_fmac_f16_e32 v93, v14, v80
	v_mul_f16_e32 v80, v129, v79
	v_lshrrev_b32_e32 v102, 16, v87
	v_fma_f16 v78, v14, v96, -v78
	v_mul_f16_e32 v96, v128, v99
	v_fmac_f16_e32 v95, v126, v79
	v_mul_f16_e32 v79, v128, v81
	v_fma_f16 v80, v126, v98, -v80
	v_mul_f16_sdwa v98, v13, v101 dst_sel:DWORD dst_unused:UNUSED_PAD src0_sel:WORD_1 src1_sel:DWORD
	v_lshrrev_b32_e32 v105, 16, v86
	v_lshrrev_b32_e32 v107, 16, v88
	v_fmac_f16_e32 v96, v127, v81
	v_mul_f16_sdwa v81, v13, v85 dst_sel:DWORD dst_unused:UNUSED_PAD src0_sel:WORD_1 src1_sel:DWORD
	v_fma_f16 v79, v127, v99, -v79
	v_mul_f16_sdwa v99, v14, v102 dst_sel:DWORD dst_unused:UNUSED_PAD src0_sel:WORD_1 src1_sel:DWORD
	v_fmac_f16_e32 v98, v13, v85
	v_mul_f16_sdwa v85, v14, v87 dst_sel:DWORD dst_unused:UNUSED_PAD src0_sel:WORD_1 src1_sel:DWORD
	v_fma_f16 v13, v13, v101, -v81
	v_mul_f16_e32 v81, v120, v105
	v_fmac_f16_e32 v99, v14, v87
	v_add_f16_e32 v101, v104, v108
	v_fma_f16 v14, v14, v102, -v85
	v_mul_f16_e32 v85, v115, v107
	v_add_f16_e32 v102, v89, v72
	v_mul_f16_e32 v87, v120, v86
	v_fmac_f16_e32 v81, v114, v86
	v_mul_f16_e32 v86, v115, v88
	v_fmac_f16_e32 v85, v113, v88
	v_add_f16_e32 v88, v70, v104
	v_fma_f16 v70, -0.5, v101, v70
	v_sub_f16_e32 v101, v89, v72
	v_add_f16_e32 v89, v47, v89
	v_fmac_f16_e32 v47, -0.5, v102
	v_sub_f16_e32 v102, v104, v108
	v_lshrrev_b32_e32 v91, 16, v71
	v_fma_f16 v87, v114, v105, -v87
	v_fmamk_f16 v104, v101, 0xbaee, v70
	v_fmac_f16_e32 v70, 0x3aee, v101
	v_add_f16_e32 v72, v89, v72
	v_add_f16_e32 v89, v106, v90
	v_fmamk_f16 v101, v102, 0x3aee, v47
	v_add_f16_e32 v105, v71, v106
	v_fmac_f16_e32 v47, 0xbaee, v102
	v_add_f16_e32 v102, v74, v73
	v_fmac_f16_e32 v71, -0.5, v89
	v_sub_f16_e32 v89, v74, v73
	v_add_f16_e32 v105, v105, v90
	v_add_f16_e32 v74, v91, v74
	v_fmac_f16_e32 v91, -0.5, v102
	v_sub_f16_e32 v90, v106, v90
	v_lshrrev_b32_e32 v94, 16, v76
	v_fmamk_f16 v102, v89, 0xbaee, v71
	v_fmac_f16_e32 v71, 0x3aee, v89
	v_add_f16_e32 v73, v74, v73
	v_add_f16_e32 v74, v92, v93
	v_fmamk_f16 v89, v90, 0x3aee, v91
	v_fmac_f16_e32 v91, 0xbaee, v90
	v_add_f16_e32 v90, v75, v78
	v_add_f16_e32 v106, v76, v92
	v_fma_f16 v74, -0.5, v74, v76
	v_sub_f16_e32 v76, v75, v78
	v_add_f16_e32 v75, v94, v75
	v_fmac_f16_e32 v94, -0.5, v90
	v_sub_f16_e32 v90, v92, v93
	v_lshrrev_b32_e32 v97, 16, v77
	v_fmamk_f16 v92, v76, 0xbaee, v74
	v_fmac_f16_e32 v74, 0x3aee, v76
	v_add_f16_e32 v75, v75, v78
	v_add_f16_e32 v76, v95, v96
	v_fmamk_f16 v78, v90, 0x3aee, v94
	v_fmac_f16_e32 v94, 0xbaee, v90
	v_add_f16_e32 v90, v80, v79
	v_add_f16_e32 v106, v106, v93
	;; [unrolled: 1-line block ×3, first 2 shown]
	v_fmac_f16_e32 v77, -0.5, v76
	v_sub_f16_e32 v76, v80, v79
	v_add_f16_e32 v80, v97, v80
	v_fmac_f16_e32 v97, -0.5, v90
	v_sub_f16_e32 v90, v95, v96
	v_lshrrev_b32_e32 v100, 16, v83
	v_fmamk_f16 v95, v76, 0xbaee, v77
	v_fmac_f16_e32 v77, 0x3aee, v76
	v_add_f16_e32 v76, v80, v79
	v_add_f16_e32 v79, v98, v99
	v_fmamk_f16 v80, v90, 0x3aee, v97
	v_fmac_f16_e32 v97, 0xbaee, v90
	v_add_f16_e32 v90, v13, v14
	v_fma_f16 v86, v113, v107, -v86
	v_add_f16_e32 v93, v93, v96
	v_add_f16_e32 v96, v83, v98
	v_fma_f16 v79, -0.5, v79, v83
	v_sub_f16_e32 v83, v13, v14
	v_add_f16_e32 v13, v100, v13
	v_fmac_f16_e32 v100, -0.5, v90
	v_sub_f16_e32 v90, v98, v99
	v_lshrrev_b32_e32 v103, 16, v84
	v_fmamk_f16 v98, v83, 0xbaee, v79
	v_fmac_f16_e32 v79, 0x3aee, v83
	v_add_f16_e32 v13, v13, v14
	v_add_f16_e32 v14, v81, v85
	v_fmamk_f16 v83, v90, 0x3aee, v100
	v_fmac_f16_e32 v100, 0xbaee, v90
	v_add_f16_e32 v90, v87, v86
	v_add_f16_e32 v88, v88, v108
	;; [unrolled: 1-line block ×4, first 2 shown]
	v_fmac_f16_e32 v84, -0.5, v14
	v_sub_f16_e32 v14, v87, v86
	v_add_f16_e32 v87, v103, v87
	v_fmac_f16_e32 v103, -0.5, v90
	v_sub_f16_e32 v81, v81, v85
	v_pack_b32_f16 v72, v88, v72
	v_fmamk_f16 v90, v14, 0xbaee, v84
	v_fmac_f16_e32 v84, 0x3aee, v14
	v_add_f16_e32 v14, v87, v86
	v_fmamk_f16 v86, v81, 0x3aee, v103
	v_fmac_f16_e32 v103, 0xbaee, v81
	v_pack_b32_f16 v81, v104, v101
	v_pack_b32_f16 v47, v70, v47
	ds_write2_b32 v136, v72, v81 offset1:32
	ds_write_b32 v136, v47 offset:256
	v_pack_b32_f16 v47, v105, v73
	v_pack_b32_f16 v70, v102, v89
	;; [unrolled: 1-line block ×5, first 2 shown]
	v_add_f16_e32 v85, v99, v85
	v_pack_b32_f16 v74, v74, v94
	v_pack_b32_f16 v75, v93, v76
	;; [unrolled: 1-line block ×3, first 2 shown]
	ds_write2_b32 v135, v47, v70 offset1:32
	ds_write_b32 v135, v71 offset:256
	ds_write2_b32 v134, v72, v73 offset1:32
	ds_write_b32 v134, v74 offset:256
	ds_write2_b32 v132, v75, v76 offset1:32
	v_pack_b32_f16 v47, v77, v97
	v_pack_b32_f16 v13, v96, v13
	;; [unrolled: 1-line block ×7, first 2 shown]
	ds_write_b32 v132, v47 offset:256
	ds_write2_b32 v131, v13, v70 offset1:32
	ds_write_b32 v131, v71 offset:256
	ds_write2_b32 v133, v14, v72 offset1:32
	ds_write_b32 v133, v73 offset:256
	s_waitcnt lgkmcnt(0)
	s_barrier
	buffer_gl0_inv
	ds_read2_b32 v[70:71], v55 offset1:112
	ds_read2_b32 v[46:47], v46 offset0:32 offset1:144
	ds_read2_b32 v[72:73], v45 offset0:64 offset1:176
	;; [unrolled: 1-line block ×7, first 2 shown]
	ds_read2_b32 v[33:34], v34 offset1:112
	s_waitcnt lgkmcnt(0)
	s_barrier
	buffer_gl0_inv
	v_lshrrev_b32_e32 v83, 16, v70
	v_lshrrev_b32_e32 v45, 16, v46
	;; [unrolled: 1-line block ×4, first 2 shown]
	v_mul_f16_sdwa v98, v27, v46 dst_sel:DWORD dst_unused:UNUSED_PAD src0_sel:WORD_1 src1_sel:DWORD
	v_lshrrev_b32_e32 v87, 16, v73
	v_mul_f16_sdwa v96, v27, v45 dst_sel:DWORD dst_unused:UNUSED_PAD src0_sel:WORD_1 src1_sel:DWORD
	v_mul_f16_sdwa v100, v28, v84 dst_sel:DWORD dst_unused:UNUSED_PAD src0_sel:WORD_1 src1_sel:DWORD
	v_lshrrev_b32_e32 v89, 16, v76
	v_lshrrev_b32_e32 v90, 16, v78
	;; [unrolled: 1-line block ×3, first 2 shown]
	v_fmac_f16_e32 v96, v27, v46
	v_mul_f16_sdwa v46, v28, v72 dst_sel:DWORD dst_unused:UNUSED_PAD src0_sel:WORD_1 src1_sel:DWORD
	v_fma_f16 v27, v27, v45, -v98
	v_mul_f16_sdwa v45, v25, v86 dst_sel:DWORD dst_unused:UNUSED_PAD src0_sel:WORD_1 src1_sel:DWORD
	v_fmac_f16_e32 v100, v28, v72
	v_mul_f16_sdwa v72, v25, v47 dst_sel:DWORD dst_unused:UNUSED_PAD src0_sel:WORD_1 src1_sel:DWORD
	v_fma_f16 v28, v28, v84, -v46
	v_mul_f16_sdwa v46, v26, v87 dst_sel:DWORD dst_unused:UNUSED_PAD src0_sel:WORD_1 src1_sel:DWORD
	;; [unrolled: 4-line block ×3, first 2 shown]
	v_lshrrev_b32_e32 v93, 16, v79
	v_fmac_f16_e32 v46, v26, v73
	v_mul_f16_sdwa v73, v23, v76 dst_sel:DWORD dst_unused:UNUSED_PAD src0_sel:WORD_1 src1_sel:DWORD
	v_fma_f16 v26, v26, v87, -v47
	v_mul_f16_sdwa v47, v24, v90 dst_sel:DWORD dst_unused:UNUSED_PAD src0_sel:WORD_1 src1_sel:DWORD
	v_fmac_f16_e32 v72, v23, v76
	v_mul_f16_sdwa v76, v24, v78 dst_sel:DWORD dst_unused:UNUSED_PAD src0_sel:WORD_1 src1_sel:DWORD
	v_lshrrev_b32_e32 v94, 16, v80
	v_fma_f16 v23, v23, v89, -v73
	v_mul_f16_sdwa v73, v19, v92 dst_sel:DWORD dst_unused:UNUSED_PAD src0_sel:WORD_1 src1_sel:DWORD
	v_fmac_f16_e32 v47, v24, v78
	v_mul_f16_sdwa v78, v19, v77 dst_sel:DWORD dst_unused:UNUSED_PAD src0_sel:WORD_1 src1_sel:DWORD
	v_fma_f16 v24, v24, v90, -v76
	v_mul_f16_sdwa v76, v20, v93 dst_sel:DWORD dst_unused:UNUSED_PAD src0_sel:WORD_1 src1_sel:DWORD
	v_lshrrev_b32_e32 v95, 16, v33
	v_lshrrev_b32_e32 v97, 16, v81
	v_fmac_f16_e32 v73, v19, v77
	v_mul_f16_sdwa v77, v20, v79 dst_sel:DWORD dst_unused:UNUSED_PAD src0_sel:WORD_1 src1_sel:DWORD
	v_fma_f16 v19, v19, v92, -v78
	v_mul_f16_sdwa v78, v21, v94 dst_sel:DWORD dst_unused:UNUSED_PAD src0_sel:WORD_1 src1_sel:DWORD
	v_fmac_f16_e32 v76, v20, v79
	v_mul_f16_sdwa v79, v21, v80 dst_sel:DWORD dst_unused:UNUSED_PAD src0_sel:WORD_1 src1_sel:DWORD
	v_lshrrev_b32_e32 v99, 16, v34
	v_fma_f16 v20, v20, v93, -v77
	v_mul_f16_sdwa v77, v22, v95 dst_sel:DWORD dst_unused:UNUSED_PAD src0_sel:WORD_1 src1_sel:DWORD
	v_fmac_f16_e32 v78, v21, v80
	v_mul_f16_sdwa v80, v22, v33 dst_sel:DWORD dst_unused:UNUSED_PAD src0_sel:WORD_1 src1_sel:DWORD
	v_fma_f16 v21, v21, v94, -v79
	v_mul_f16_sdwa v79, v17, v97 dst_sel:DWORD dst_unused:UNUSED_PAD src0_sel:WORD_1 src1_sel:DWORD
	v_fmac_f16_e32 v77, v22, v33
	v_mul_f16_sdwa v33, v17, v81 dst_sel:DWORD dst_unused:UNUSED_PAD src0_sel:WORD_1 src1_sel:DWORD
	;; [unrolled: 4-line block ×3, first 2 shown]
	v_fma_f16 v17, v17, v97, -v33
	v_add_f16_e32 v33, v96, v100
	v_fmac_f16_e32 v80, v18, v34
	v_add_f16_e32 v34, v70, v96
	v_fma_f16 v18, v18, v99, -v81
	v_add_f16_e32 v81, v27, v28
	v_fma_f16 v33, -0.5, v33, v70
	v_sub_f16_e32 v70, v27, v28
	v_add_f16_e32 v27, v83, v27
	v_lshrrev_b32_e32 v85, 16, v71
	v_fmac_f16_e32 v83, -0.5, v81
	v_sub_f16_e32 v81, v96, v100
	v_lshrrev_b32_e32 v88, 16, v74
	v_add_f16_e32 v27, v27, v28
	v_add_f16_e32 v28, v45, v46
	v_fmamk_f16 v84, v70, 0xbaee, v33
	v_fmamk_f16 v86, v81, 0x3aee, v83
	v_fmac_f16_e32 v83, 0xbaee, v81
	v_add_f16_e32 v81, v25, v26
	v_fmac_f16_e32 v33, 0x3aee, v70
	v_add_f16_e32 v70, v71, v45
	v_fmac_f16_e32 v71, -0.5, v28
	v_sub_f16_e32 v28, v25, v26
	v_add_f16_e32 v25, v85, v25
	v_fmac_f16_e32 v85, -0.5, v81
	v_sub_f16_e32 v45, v45, v46
	v_add_f16_e32 v87, v70, v46
	v_fmamk_f16 v81, v28, 0xbaee, v71
	v_fmac_f16_e32 v71, 0x3aee, v28
	v_sub_f16_e32 v70, v23, v24
	v_fmamk_f16 v28, v45, 0x3aee, v85
	v_fmac_f16_e32 v85, 0xbaee, v45
	v_add_f16_e32 v45, v23, v24
	v_add_f16_e32 v23, v88, v23
	v_lshrrev_b32_e32 v91, 16, v75
	v_add_f16_e32 v25, v25, v26
	v_add_f16_e32 v26, v72, v47
	;; [unrolled: 1-line block ×3, first 2 shown]
	v_fmac_f16_e32 v88, -0.5, v45
	v_sub_f16_e32 v45, v72, v47
	v_add_f16_e32 v23, v23, v24
	v_add_f16_e32 v24, v73, v76
	v_fma_f16 v26, -0.5, v26, v74
	v_add_f16_e32 v74, v46, v47
	v_fmamk_f16 v89, v45, 0x3aee, v88
	v_add_f16_e32 v46, v75, v73
	v_fmac_f16_e32 v88, 0xbaee, v45
	v_add_f16_e32 v45, v19, v20
	v_fmac_f16_e32 v75, -0.5, v24
	v_sub_f16_e32 v24, v19, v20
	v_add_f16_e32 v19, v91, v19
	v_lshrrev_b32_e32 v43, 16, v13
	v_fmac_f16_e32 v91, -0.5, v45
	v_sub_f16_e32 v45, v73, v76
	v_add_f16_e32 v90, v46, v76
	v_add_f16_e32 v19, v19, v20
	;; [unrolled: 1-line block ×3, first 2 shown]
	v_fmamk_f16 v73, v24, 0xbaee, v75
	v_fmac_f16_e32 v75, 0x3aee, v24
	v_fmamk_f16 v24, v45, 0x3aee, v91
	v_add_f16_e32 v46, v13, v78
	v_fmac_f16_e32 v91, 0xbaee, v45
	v_add_f16_e32 v45, v21, v22
	v_fma_f16 v13, -0.5, v20, v13
	v_sub_f16_e32 v20, v21, v22
	v_add_f16_e32 v21, v43, v21
	v_lshrrev_b32_e32 v44, 16, v14
	v_add_f16_e32 v76, v46, v77
	v_fmac_f16_e32 v43, -0.5, v45
	v_sub_f16_e32 v45, v78, v77
	v_fmamk_f16 v77, v20, 0xbaee, v13
	v_fmac_f16_e32 v13, 0x3aee, v20
	v_add_f16_e32 v20, v21, v22
	v_add_f16_e32 v21, v79, v80
	;; [unrolled: 1-line block ×3, first 2 shown]
	v_fmamk_f16 v22, v45, 0x3aee, v43
	v_fmac_f16_e32 v43, 0xbaee, v45
	v_add_f16_e32 v45, v17, v18
	v_add_f16_e32 v46, v14, v79
	v_fmac_f16_e32 v14, -0.5, v21
	v_sub_f16_e32 v21, v17, v18
	v_add_f16_e32 v17, v44, v17
	v_fmamk_f16 v72, v70, 0xbaee, v26
	v_fmac_f16_e32 v26, 0x3aee, v70
	v_fmac_f16_e32 v44, -0.5, v45
	v_fmamk_f16 v45, v21, 0xbaee, v14
	v_add_f16_e32 v70, v17, v18
	v_pack_b32_f16 v17, v34, v27
	v_pack_b32_f16 v18, v84, v86
	v_fmac_f16_e32 v14, 0x3aee, v21
	v_pack_b32_f16 v21, v33, v83
	v_sub_f16_e32 v78, v79, v80
	ds_write2_b32 v140, v17, v18 offset1:96
	ds_write_b32 v140, v21 offset:768
	v_pack_b32_f16 v17, v87, v25
	v_pack_b32_f16 v18, v81, v28
	;; [unrolled: 1-line block ×5, first 2 shown]
	v_add_f16_e32 v46, v46, v80
	v_fmamk_f16 v47, v78, 0x3aee, v44
	v_pack_b32_f16 v26, v26, v88
	v_fmac_f16_e32 v44, 0xbaee, v78
	v_pack_b32_f16 v19, v90, v19
	v_pack_b32_f16 v24, v73, v24
	ds_write2_b32 v141, v17, v18 offset1:96
	ds_write_b32 v141, v21 offset:768
	ds_write2_b32 v142, v23, v25 offset1:96
	ds_write_b32 v142, v26 offset:768
	ds_write2_b32 v137, v19, v24 offset1:96
	v_pack_b32_f16 v17, v75, v91
	v_pack_b32_f16 v18, v76, v20
	;; [unrolled: 1-line block ×7, first 2 shown]
	ds_write_b32 v137, v17 offset:768
	ds_write2_b32 v139, v18, v19 offset1:96
	ds_write_b32 v139, v20 offset:768
	ds_write2_b32 v138, v21, v22 offset1:96
	ds_write_b32 v138, v23 offset:768
	v_add_nc_u32_e32 v19, 0x400, v55
	v_add_nc_u32_e32 v20, 0x800, v55
	s_waitcnt lgkmcnt(0)
	s_barrier
	buffer_gl0_inv
	ds_read2_b32 v[17:18], v55 offset1:112
	ds_read2_b32 v[25:26], v19 offset0:32 offset1:144
	v_add_nc_u32_e32 v19, 0x1600, v55
	v_add_nc_u32_e32 v71, 0x1a00, v55
	ds_read2_b32 v[33:34], v20 offset0:64 offset1:176
	ds_read2_b32 v[27:28], v41 offset0:96 offset1:208
	;; [unrolled: 1-line block ×5, first 2 shown]
	s_and_saveexec_b32 s0, vcc_lo
	s_cbranch_execz .LBB0_7
; %bb.6:
	ds_read_b32 v13, v55 offset:896
	ds_read_b32 v46, v55 offset:2048
	;; [unrolled: 1-line block ×7, first 2 shown]
	s_waitcnt lgkmcnt(6)
	v_lshrrev_b32_e32 v43, 16, v13
	s_waitcnt lgkmcnt(5)
	v_lshrrev_b32_e32 v70, 16, v46
	;; [unrolled: 2-line block ×7, first 2 shown]
.LBB0_7:
	s_or_b32 exec_lo, exec_lo, s0
	s_waitcnt lgkmcnt(5)
	v_lshrrev_b32_e32 v41, 16, v25
	s_waitcnt lgkmcnt(4)
	v_lshrrev_b32_e32 v42, 16, v33
	;; [unrolled: 2-line block ×5, first 2 shown]
	v_mul_f16_sdwa v80, v8, v41 dst_sel:DWORD dst_unused:UNUSED_PAD src0_sel:WORD_1 src1_sel:DWORD
	v_mul_f16_sdwa v81, v8, v25 dst_sel:DWORD dst_unused:UNUSED_PAD src0_sel:WORD_1 src1_sel:DWORD
	;; [unrolled: 1-line block ×4, first 2 shown]
	s_waitcnt lgkmcnt(0)
	v_lshrrev_b32_e32 v74, 16, v19
	v_lshrrev_b32_e32 v75, 16, v26
	v_fmac_f16_e32 v80, v8, v25
	v_fma_f16 v8, v8, v41, -v81
	v_fmac_f16_e32 v83, v9, v33
	v_fma_f16 v9, v9, v42, -v84
	v_mul_f16_sdwa v25, v10, v71 dst_sel:DWORD dst_unused:UNUSED_PAD src0_sel:WORD_1 src1_sel:DWORD
	v_mul_f16_sdwa v33, v10, v27 dst_sel:DWORD dst_unused:UNUSED_PAD src0_sel:WORD_1 src1_sel:DWORD
	;; [unrolled: 1-line block ×5, first 2 shown]
	v_lshrrev_b32_e32 v76, 16, v34
	v_lshrrev_b32_e32 v77, 16, v28
	;; [unrolled: 1-line block ×3, first 2 shown]
	v_fmac_f16_e32 v25, v10, v27
	v_fma_f16 v10, v10, v71, -v33
	v_fmac_f16_e32 v41, v11, v23
	v_fma_f16 v11, v11, v72, -v42
	v_fmac_f16_e32 v81, v29, v21
	v_mul_f16_sdwa v21, v29, v21 dst_sel:DWORD dst_unused:UNUSED_PAD src0_sel:WORD_1 src1_sel:DWORD
	v_mul_f16_sdwa v23, v30, v74 dst_sel:DWORD dst_unused:UNUSED_PAD src0_sel:WORD_1 src1_sel:DWORD
	;; [unrolled: 1-line block ×5, first 2 shown]
	v_lshrrev_b32_e32 v79, 16, v22
	v_fma_f16 v21, v29, v73, -v21
	v_fmac_f16_e32 v23, v30, v19
	v_fma_f16 v19, v30, v74, -v27
	v_fmac_f16_e32 v33, v4, v26
	v_fma_f16 v4, v4, v75, -v42
	v_mul_f16_sdwa v26, v5, v76 dst_sel:DWORD dst_unused:UNUSED_PAD src0_sel:WORD_1 src1_sel:DWORD
	v_mul_f16_sdwa v27, v5, v34 dst_sel:DWORD dst_unused:UNUSED_PAD src0_sel:WORD_1 src1_sel:DWORD
	;; [unrolled: 1-line block ×4, first 2 shown]
	v_lshrrev_b32_e32 v85, 16, v20
	v_mul_f16_sdwa v30, v6, v28 dst_sel:DWORD dst_unused:UNUSED_PAD src0_sel:WORD_1 src1_sel:DWORD
	v_fmac_f16_e32 v26, v5, v34
	v_fma_f16 v5, v5, v76, -v27
	v_fmac_f16_e32 v29, v6, v28
	v_fmac_f16_e32 v42, v7, v24
	v_mul_f16_sdwa v24, v7, v24 dst_sel:DWORD dst_unused:UNUSED_PAD src0_sel:WORD_1 src1_sel:DWORD
	v_mul_f16_sdwa v27, v31, v79 dst_sel:DWORD dst_unused:UNUSED_PAD src0_sel:WORD_1 src1_sel:DWORD
	;; [unrolled: 1-line block ×3, first 2 shown]
	v_fma_f16 v6, v6, v77, -v30
	v_mul_f16_sdwa v30, v32, v85 dst_sel:DWORD dst_unused:UNUSED_PAD src0_sel:WORD_1 src1_sel:DWORD
	v_mul_f16_sdwa v34, v32, v20 dst_sel:DWORD dst_unused:UNUSED_PAD src0_sel:WORD_1 src1_sel:DWORD
	v_fma_f16 v7, v7, v78, -v24
	v_fmac_f16_e32 v27, v31, v22
	v_fma_f16 v22, v31, v79, -v28
	v_add_f16_e32 v24, v80, v23
	v_add_f16_e32 v28, v8, v19
	v_sub_f16_e32 v8, v8, v19
	v_add_f16_e32 v19, v83, v81
	v_add_f16_e32 v31, v9, v21
	v_fmac_f16_e32 v30, v32, v20
	v_fma_f16 v20, v32, v85, -v34
	v_sub_f16_e32 v23, v80, v23
	v_sub_f16_e32 v32, v83, v81
	;; [unrolled: 1-line block ×3, first 2 shown]
	v_add_f16_e32 v21, v25, v41
	v_add_f16_e32 v34, v10, v11
	v_sub_f16_e32 v25, v41, v25
	v_sub_f16_e32 v10, v11, v10
	v_add_f16_e32 v11, v19, v24
	v_add_f16_e32 v41, v31, v28
	v_sub_f16_e32 v71, v19, v24
	v_sub_f16_e32 v72, v31, v28
	;; [unrolled: 1-line block ×6, first 2 shown]
	v_add_f16_e32 v73, v25, v32
	v_add_f16_e32 v74, v10, v9
	v_sub_f16_e32 v75, v25, v32
	v_sub_f16_e32 v76, v10, v9
	;; [unrolled: 1-line block ×3, first 2 shown]
	v_add_f16_e32 v11, v21, v11
	v_add_f16_e32 v21, v34, v41
	v_sub_f16_e32 v9, v9, v8
	v_sub_f16_e32 v25, v23, v25
	;; [unrolled: 1-line block ×3, first 2 shown]
	v_add_f16_e32 v23, v73, v23
	v_add_f16_e32 v8, v74, v8
	;; [unrolled: 1-line block ×3, first 2 shown]
	v_add_f16_sdwa v17, v17, v21 dst_sel:DWORD dst_unused:UNUSED_PAD src0_sel:WORD_1 src1_sel:DWORD
	v_mul_f16_e32 v24, 0x3a52, v24
	v_mul_f16_e32 v28, 0x3a52, v28
	;; [unrolled: 1-line block ×8, first 2 shown]
	v_fmamk_f16 v11, v11, 0xbcab, v34
	v_fmamk_f16 v21, v21, 0xbcab, v17
	;; [unrolled: 1-line block ×4, first 2 shown]
	v_fma_f16 v41, v71, 0x39e0, -v41
	v_fma_f16 v73, v72, 0x39e0, -v73
	;; [unrolled: 1-line block ×4, first 2 shown]
	v_fmamk_f16 v71, v25, 0xb574, v74
	v_fmamk_f16 v72, v10, 0xb574, v75
	v_fma_f16 v25, v25, 0x3574, -v76
	v_fma_f16 v10, v10, 0x3574, -v77
	;; [unrolled: 1-line block ×4, first 2 shown]
	v_add_f16_e32 v19, v19, v11
	v_add_f16_e32 v31, v31, v21
	v_add_f16_e32 v41, v41, v11
	v_add_f16_e32 v73, v73, v21
	v_add_f16_e32 v11, v24, v11
	v_add_f16_e32 v21, v28, v21
	v_fmac_f16_e32 v71, 0xb70e, v23
	v_fmac_f16_e32 v10, 0xb70e, v8
	;; [unrolled: 1-line block ×5, first 2 shown]
	v_sub_f16_e32 v23, v31, v71
	v_add_f16_e32 v24, v10, v11
	v_sub_f16_e32 v28, v21, v25
	v_sub_f16_e32 v10, v11, v10
	v_add_f16_e32 v11, v25, v21
	v_add_f16_e32 v21, v71, v31
	;; [unrolled: 1-line block ×4, first 2 shown]
	v_sub_f16_e32 v30, v33, v30
	v_sub_f16_e32 v4, v4, v20
	v_add_f16_e32 v20, v26, v27
	v_add_f16_e32 v33, v5, v22
	v_fmac_f16_e32 v72, 0xb70e, v8
	v_sub_f16_e32 v74, v41, v9
	v_add_f16_e32 v9, v9, v41
	v_sub_f16_e32 v26, v26, v27
	v_sub_f16_e32 v5, v5, v22
	v_add_f16_e32 v22, v29, v42
	v_add_f16_e32 v27, v6, v7
	v_sub_f16_e32 v29, v42, v29
	v_sub_f16_e32 v6, v7, v6
	v_add_f16_e32 v7, v20, v25
	v_add_f16_e32 v41, v33, v31
	;; [unrolled: 1-line block ×4, first 2 shown]
	v_sub_f16_e32 v32, v73, v32
	v_sub_f16_e32 v19, v19, v72
	;; [unrolled: 1-line block ×8, first 2 shown]
	v_add_f16_e32 v72, v29, v26
	v_add_f16_e32 v73, v6, v5
	v_sub_f16_e32 v76, v29, v26
	v_sub_f16_e32 v77, v6, v5
	;; [unrolled: 1-line block ×3, first 2 shown]
	v_add_f16_e32 v7, v22, v7
	v_add_f16_e32 v22, v27, v41
	v_sub_f16_e32 v5, v5, v4
	v_sub_f16_e32 v29, v30, v29
	;; [unrolled: 1-line block ×3, first 2 shown]
	v_add_f16_e32 v27, v72, v30
	v_add_f16_e32 v4, v73, v4
	;; [unrolled: 1-line block ×3, first 2 shown]
	v_add_f16_sdwa v18, v18, v22 dst_sel:DWORD dst_unused:UNUSED_PAD src0_sel:WORD_1 src1_sel:DWORD
	v_mul_f16_e32 v25, 0x3a52, v25
	v_mul_f16_e32 v31, 0x3a52, v31
	;; [unrolled: 1-line block ×8, first 2 shown]
	v_fmamk_f16 v7, v7, 0xbcab, v30
	v_fmamk_f16 v22, v22, 0xbcab, v18
	;; [unrolled: 1-line block ×4, first 2 shown]
	v_fma_f16 v41, v42, 0x39e0, -v41
	v_fma_f16 v72, v71, 0x39e0, -v72
	;; [unrolled: 1-line block ×4, first 2 shown]
	v_fmamk_f16 v42, v29, 0xb574, v73
	v_fmamk_f16 v71, v6, 0xb574, v76
	v_fma_f16 v29, v29, 0x3574, -v77
	v_fma_f16 v6, v6, 0x3574, -v78
	;; [unrolled: 1-line block ×4, first 2 shown]
	v_add_f16_e32 v20, v20, v7
	v_add_f16_e32 v33, v33, v22
	v_add_f16_e32 v41, v41, v7
	v_add_f16_e32 v72, v72, v22
	v_add_f16_e32 v7, v25, v7
	v_add_f16_e32 v22, v31, v22
	v_fmac_f16_e32 v6, 0xb70e, v4
	v_fmac_f16_e32 v29, 0xb70e, v27
	;; [unrolled: 1-line block ×4, first 2 shown]
	v_pack_b32_f16 v17, v34, v17
	v_fmac_f16_e32 v26, 0xb70e, v27
	v_fmac_f16_e32 v5, 0xb70e, v4
	v_pack_b32_f16 v8, v8, v23
	v_add_f16_e32 v27, v6, v7
	v_sub_f16_e32 v31, v22, v29
	v_sub_f16_e32 v6, v7, v6
	v_add_f16_e32 v7, v29, v22
	v_pack_b32_f16 v22, v24, v28
	v_pack_b32_f16 v23, v74, v75
	v_add_f16_e32 v4, v71, v20
	v_sub_f16_e32 v25, v33, v42
	ds_write_b32 v55, v17
	ds_write_b32 v82, v8 offset:1152
	ds_write_b32 v82, v22 offset:2304
	;; [unrolled: 1-line block ×3, first 2 shown]
	v_pack_b32_f16 v8, v9, v32
	v_sub_f16_e32 v73, v41, v5
	v_add_f16_e32 v76, v26, v72
	v_pack_b32_f16 v9, v10, v11
	v_add_f16_e32 v5, v5, v41
	v_sub_f16_e32 v26, v72, v26
	v_pack_b32_f16 v10, v19, v21
	v_pack_b32_f16 v11, v30, v18
	v_sub_f16_e32 v20, v20, v71
	v_add_f16_e32 v24, v42, v33
	v_pack_b32_f16 v4, v4, v25
	ds_write_b32 v82, v8 offset:4608
	ds_write_b32 v82, v9 offset:5760
	;; [unrolled: 1-line block ×5, first 2 shown]
	v_pack_b32_f16 v4, v27, v31
	v_pack_b32_f16 v8, v73, v76
	;; [unrolled: 1-line block ×5, first 2 shown]
	ds_write_b32 v82, v4 offset:2752
	ds_write_b32 v82, v8 offset:3904
	;; [unrolled: 1-line block ×5, first 2 shown]
	s_and_saveexec_b32 s0, vcc_lo
	s_cbranch_execz .LBB0_9
; %bb.8:
	v_mul_f16_sdwa v5, v2, v44 dst_sel:DWORD dst_unused:UNUSED_PAD src0_sel:WORD_1 src1_sel:DWORD
	v_mul_f16_sdwa v6, v0, v70 dst_sel:DWORD dst_unused:UNUSED_PAD src0_sel:WORD_1 src1_sel:DWORD
	;; [unrolled: 1-line block ×6, first 2 shown]
	v_fmac_f16_e32 v5, v2, v14
	v_mul_f16_sdwa v8, v1, v47 dst_sel:DWORD dst_unused:UNUSED_PAD src0_sel:WORD_1 src1_sel:DWORD
	v_fmac_f16_e32 v6, v0, v46
	v_fmac_f16_e32 v7, v16, v39
	v_fma_f16 v9, v16, v40, -v9
	v_mul_f16_sdwa v16, v15, v36 dst_sel:DWORD dst_unused:UNUSED_PAD src0_sel:WORD_1 src1_sel:DWORD
	v_mul_f16_sdwa v18, v1, v45 dst_sel:DWORD dst_unused:UNUSED_PAD src0_sel:WORD_1 src1_sel:DWORD
	v_fma_f16 v0, v0, v70, -v11
	v_mul_f16_sdwa v11, v2, v14 dst_sel:DWORD dst_unused:UNUSED_PAD src0_sel:WORD_1 src1_sel:DWORD
	v_mul_f16_sdwa v14, v3, v35 dst_sel:DWORD dst_unused:UNUSED_PAD src0_sel:WORD_1 src1_sel:DWORD
	v_fmac_f16_e32 v4, v3, v35
	v_fmac_f16_e32 v8, v1, v45
	v_fma_f16 v16, v15, v38, -v16
	v_fma_f16 v1, v1, v47, -v18
	;; [unrolled: 1-line block ×4, first 2 shown]
	v_mul_f16_sdwa v17, v15, v38 dst_sel:DWORD dst_unused:UNUSED_PAD src0_sel:WORD_1 src1_sel:DWORD
	v_add_f16_e32 v11, v9, v0
	v_add_f16_e32 v14, v16, v1
	v_sub_f16_e32 v19, v6, v7
	v_add_f16_e32 v18, v3, v2
	v_fmac_f16_e32 v17, v15, v36
	v_add_f16_e32 v6, v7, v6
	v_add_f16_e32 v20, v14, v11
	v_sub_f16_e32 v2, v3, v2
	v_sub_f16_e32 v22, v11, v18
	v_add_f16_e32 v7, v17, v8
	v_sub_f16_e32 v1, v1, v16
	v_add_f16_e32 v20, v18, v20
	v_sub_f16_e32 v18, v18, v14
	v_mul_f16_e32 v22, 0x3a52, v22
	v_sub_f16_e32 v0, v0, v9
	v_sub_f16_e32 v10, v4, v5
	;; [unrolled: 1-line block ×3, first 2 shown]
	v_add_f16_e32 v4, v4, v5
	v_add_f16_e32 v17, v7, v6
	v_fmamk_f16 v26, v18, 0x2b26, v22
	v_mul_f16_e32 v8, 0x2b26, v18
	v_sub_f16_e32 v9, v2, v1
	v_sub_f16_e32 v18, v0, v2
	v_add_f16_e32 v2, v2, v1
	v_sub_f16_e32 v21, v10, v15
	v_add_f16_e32 v24, v43, v20
	;; [unrolled: 2-line block ×5, first 2 shown]
	v_sub_f16_e32 v0, v1, v0
	v_mul_f16_e32 v21, 0x3846, v21
	v_fmamk_f16 v20, v20, 0xbcab, v24
	v_mul_f16_e32 v3, 0x3a52, v3
	v_sub_f16_e32 v4, v4, v7
	v_add_f16_e32 v13, v13, v17
	v_mul_f16_e32 v9, 0x3846, v9
	v_mul_f16_e32 v27, 0xbb00, v15
	v_sub_f16_e32 v11, v14, v11
	v_sub_f16_e32 v6, v7, v6
	v_mul_f16_e32 v7, 0xbb00, v0
	v_fmamk_f16 v25, v23, 0xb574, v21
	v_add_f16_e32 v10, v10, v19
	v_add_f16_e32 v5, v26, v20
	v_fmamk_f16 v19, v4, 0x2b26, v3
	v_fmamk_f16 v17, v17, 0xbcab, v13
	;; [unrolled: 1-line block ×3, first 2 shown]
	v_mul_f16_e32 v4, 0x2b26, v4
	v_fma_f16 v1, v23, 0x3574, -v27
	v_fma_f16 v22, v11, 0xb9e0, -v22
	v_fma_f16 v3, v6, 0xb9e0, -v3
	v_fma_f16 v7, v18, 0x3574, -v7
	v_fmac_f16_e32 v25, 0xb70e, v10
	v_add_f16_e32 v19, v19, v17
	v_fmac_f16_e32 v26, 0xb70e, v2
	v_fma_f16 v8, v11, 0x39e0, -v8
	v_fma_f16 v11, v15, 0xbb00, -v21
	;; [unrolled: 1-line block ×4, first 2 shown]
	v_fmac_f16_e32 v1, 0xb70e, v10
	v_add_f16_e32 v15, v22, v20
	v_add_f16_e32 v3, v3, v17
	v_fmac_f16_e32 v7, 0xb70e, v2
	v_add_f16_e32 v16, v25, v5
	v_add_f16_e32 v8, v8, v20
	v_fmac_f16_e32 v11, 0xb70e, v10
	v_fmac_f16_e32 v0, 0xb70e, v2
	v_sub_f16_e32 v2, v5, v25
	v_add_f16_e32 v5, v26, v19
	v_add_f16_e32 v4, v4, v17
	;; [unrolled: 1-line block ×3, first 2 shown]
	v_sub_f16_e32 v10, v3, v7
	v_sub_f16_e32 v1, v15, v1
	v_add_f16_e32 v3, v7, v3
	v_sub_f16_e32 v6, v8, v11
	v_add_f16_e32 v8, v11, v8
	v_pack_b32_f16 v11, v13, v24
	v_pack_b32_f16 v2, v5, v2
	v_sub_f16_e32 v5, v4, v0
	v_add_f16_e32 v0, v0, v4
	v_sub_f16_e32 v14, v19, v26
	v_pack_b32_f16 v1, v3, v1
	ds_write_b32 v55, v11 offset:896
	ds_write_b32 v82, v2 offset:2048
	v_pack_b32_f16 v2, v5, v8
	v_pack_b32_f16 v0, v0, v6
	;; [unrolled: 1-line block ×4, first 2 shown]
	ds_write_b32 v82, v1 offset:3200
	ds_write_b32 v82, v2 offset:4352
	;; [unrolled: 1-line block ×5, first 2 shown]
.LBB0_9:
	s_or_b32 exec_lo, exec_lo, s0
	s_waitcnt lgkmcnt(0)
	s_barrier
	buffer_gl0_inv
	ds_read2_b32 v[2:3], v55 offset1:112
	v_add_nc_u32_e32 v0, 0xc00, v55
	s_mov_b32 s4, 0x10410410
	s_mov_b32 s5, 0x3f404104
	s_mul_i32 s7, s8, 0xfc0
	s_mul_i32 s6, s8, 0xfffff200
	ds_read2_b32 v[0:1], v0 offset0:128 offset1:240
	s_waitcnt lgkmcnt(1)
	v_lshrrev_b32_e32 v4, 16, v2
	v_mul_f16_sdwa v5, v69, v2 dst_sel:DWORD dst_unused:UNUSED_PAD src0_sel:WORD_1 src1_sel:DWORD
	v_lshrrev_b32_e32 v19, 16, v3
	v_mul_f16_sdwa v20, v67, v3 dst_sel:DWORD dst_unused:UNUSED_PAD src0_sel:WORD_1 src1_sel:DWORD
	v_mul_f16_sdwa v6, v69, v4 dst_sel:DWORD dst_unused:UNUSED_PAD src0_sel:WORD_1 src1_sel:DWORD
	v_fma_f16 v4, v69, v4, -v5
	s_waitcnt lgkmcnt(0)
	v_lshrrev_b32_e32 v10, 16, v1
	v_mul_f16_sdwa v5, v68, v1 dst_sel:DWORD dst_unused:UNUSED_PAD src0_sel:WORD_1 src1_sel:DWORD
	v_mul_f16_sdwa v13, v67, v19 dst_sel:DWORD dst_unused:UNUSED_PAD src0_sel:WORD_1 src1_sel:DWORD
	v_fmac_f16_e32 v6, v69, v2
	v_cvt_f32_f16_e32 v2, v4
	v_mul_f16_sdwa v14, v68, v10 dst_sel:DWORD dst_unused:UNUSED_PAD src0_sel:WORD_1 src1_sel:DWORD
	v_fma_f16 v11, v68, v10, -v5
	v_fmac_f16_e32 v13, v67, v3
	v_cvt_f32_f16_e32 v8, v6
	v_cvt_f64_f32_e32 v[4:5], v2
	v_mad_u64_u32 v[6:7], null, s10, v12, 0
	v_cvt_f32_f16_e32 v2, v11
	v_cvt_f64_f32_e32 v[8:9], v8
	v_fmac_f16_e32 v14, v68, v1
	v_cvt_f32_f16_e32 v15, v13
	v_mad_u64_u32 v[10:11], null, s8, v65, 0
	v_cvt_f64_f32_e32 v[1:2], v2
	v_cvt_f32_f16_e32 v16, v14
	v_mul_f64 v[4:5], v[4:5], s[4:5]
	v_mad_u64_u32 v[12:13], null, s11, v12, v[7:8]
	v_cvt_f64_f32_e32 v[13:14], v15
	v_cvt_f64_f32_e32 v[15:16], v16
	v_mul_f64 v[8:9], v[8:9], s[4:5]
	v_mad_u64_u32 v[17:18], null, s9, v65, v[11:12]
	v_mov_b32_e32 v7, v12
	v_lshlrev_b64 v[6:7], 2, v[6:7]
	v_mov_b32_e32 v11, v17
	v_mul_f64 v[17:18], v[1:2], s[4:5]
	v_and_or_b32 v3, 0x1ff, v5, v4
	v_lshrrev_b32_e32 v4, 8, v5
	v_add_co_u32 v1, vcc_lo, s2, v6
	v_add_co_ci_u32_e32 v2, vcc_lo, s3, v7, vcc_lo
	v_mul_f64 v[6:7], v[13:14], s[4:5]
	v_mul_f64 v[12:13], v[15:16], s[4:5]
	v_and_or_b32 v8, 0x1ff, v9, v8
	v_cmp_ne_u32_e32 vcc_lo, 0, v3
	v_lshrrev_b32_e32 v15, 8, v9
	v_bfe_u32 v16, v9, 20, 11
	v_bfe_u32 v14, v5, 20, 11
	v_lshrrev_b32_e32 v9, 16, v9
	v_cndmask_b32_e64 v3, 0, 1, vcc_lo
	v_cmp_ne_u32_e32 vcc_lo, 0, v8
	v_sub_nc_u32_e32 v24, 0x3f1, v16
	v_sub_nc_u32_e32 v21, 0x3f1, v14
	v_add_nc_u32_e32 v14, 0xfffffc10, v14
	v_and_or_b32 v3, 0xffe, v4, v3
	v_and_or_b32 v17, 0x1ff, v18, v17
	v_cndmask_b32_e64 v8, 0, 1, vcc_lo
	v_bfe_u32 v23, v18, 20, 11
	v_med3_i32 v4, v21, 0, 13
	v_lshl_or_b32 v27, v14, 12, v3
	v_cmp_ne_u32_e32 vcc_lo, 0, v17
	v_and_or_b32 v8, 0xffe, v15, v8
	v_med3_i32 v15, v24, 0, 13
	v_or_b32_e32 v24, 0x1000, v3
	v_and_or_b32 v12, 0x1ff, v13, v12
	v_cndmask_b32_e64 v17, 0, 1, vcc_lo
	v_cmp_ne_u32_e32 vcc_lo, 0, v3
	v_or_b32_e32 v29, 0x1000, v8
	v_lshrrev_b32_e32 v22, 8, v18
	v_add_nc_u32_e32 v16, 0xfffffc10, v16
	v_sub_nc_u32_e32 v26, 0x3f1, v23
	v_cndmask_b32_e64 v3, 0, 1, vcc_lo
	v_cmp_ne_u32_e32 vcc_lo, 0, v12
	v_lshrrev_b32_e32 v30, v15, v29
	v_lshrrev_b32_e32 v31, v4, v24
	;; [unrolled: 1-line block ×3, first 2 shown]
	v_bfe_u32 v25, v13, 20, 11
	v_cndmask_b32_e64 v12, 0, 1, vcc_lo
	v_cmp_ne_u32_e32 vcc_lo, 0, v8
	v_lshlrev_b32_e32 v15, v15, v30
	v_and_or_b32 v17, 0xffe, v22, v17
	v_med3_i32 v22, v26, 0, 13
	v_lshl_or_b32 v26, v16, 12, v8
	v_cndmask_b32_e64 v8, 0, 1, vcc_lo
	v_lshlrev_b32_e32 v4, v4, v31
	v_cmp_ne_u32_e32 vcc_lo, v15, v29
	v_sub_nc_u32_e32 v28, 0x3f1, v25
	v_and_or_b32 v12, 0xffe, v21, v12
	v_add_nc_u32_e32 v25, 0xfffffc10, v25
	v_lshl_or_b32 v8, v8, 9, 0x7c00
	v_cndmask_b32_e64 v15, 0, 1, vcc_lo
	v_cmp_ne_u32_e32 vcc_lo, v4, v24
	v_med3_i32 v21, v28, 0, 13
	v_or_b32_e32 v24, 0x1000, v12
	v_or_b32_e32 v28, 0x1000, v17
	;; [unrolled: 1-line block ×3, first 2 shown]
	v_cndmask_b32_e64 v4, 0, 1, vcc_lo
	v_cmp_gt_i32_e32 vcc_lo, 1, v16
	v_lshrrev_b32_e32 v30, v21, v24
	v_lshrrev_b32_e32 v29, v22, v28
	v_lshl_or_b32 v3, v3, 9, 0x7c00
	v_or_b32_e32 v4, v31, v4
	v_cndmask_b32_e32 v15, v26, v15, vcc_lo
	v_cmp_gt_i32_e32 vcc_lo, 1, v14
	v_lshlrev_b32_e32 v21, v21, v30
	v_lshl_or_b32 v26, v25, 12, v12
	v_lshlrev_b32_e32 v22, v22, v29
	v_lshrrev_b32_e32 v5, 16, v5
	v_cndmask_b32_e32 v4, v27, v4, vcc_lo
	v_and_b32_e32 v27, 7, v15
	v_cmp_ne_u32_e32 vcc_lo, v21, v24
	v_lshrrev_b32_e32 v15, 2, v15
	v_lshlrev_b64 v[10:11], 2, v[10:11]
	v_and_b32_e32 v31, 7, v4
	v_cmp_eq_u32_e64 s0, 3, v27
	v_cndmask_b32_e64 v21, 0, 1, vcc_lo
	v_cmp_lt_i32_e32 vcc_lo, 5, v27
	v_lshrrev_b32_e32 v4, 2, v4
	v_cmp_lt_i32_e64 s1, 5, v31
	v_cmp_eq_u32_e64 s2, 3, v31
	v_or_b32_e32 v21, v30, v21
	s_or_b32 vcc_lo, s0, vcc_lo
	v_add_nc_u32_e32 v23, 0xfffffc10, v23
	v_add_co_ci_u32_e32 v15, vcc_lo, 0, v15, vcc_lo
	s_or_b32 vcc_lo, s2, s1
	v_and_or_b32 v6, 0x1ff, v7, v6
	v_add_co_ci_u32_e32 v4, vcc_lo, 0, v4, vcc_lo
	v_cmp_gt_i32_e32 vcc_lo, 31, v16
	v_cmp_gt_i32_e64 s1, 1, v23
	v_lshrrev_b32_e32 v13, 16, v13
	s_mul_hi_u32 s2, s8, 0xfc0
	v_cndmask_b32_e32 v15, 0x7c00, v15, vcc_lo
	v_cmp_gt_i32_e32 vcc_lo, 31, v14
	v_cndmask_b32_e32 v4, 0x7c00, v4, vcc_lo
	v_cmp_eq_u32_e32 vcc_lo, 0x40f, v16
	v_cndmask_b32_e32 v8, v15, v8, vcc_lo
	v_cmp_gt_i32_e32 vcc_lo, 1, v25
	v_cndmask_b32_e32 v15, v26, v21, vcc_lo
	v_cmp_eq_u32_e32 vcc_lo, 0x40f, v14
	v_cndmask_b32_e32 v3, v4, v3, vcc_lo
	v_and_or_b32 v4, 0x8000, v9, v8
	v_cmp_ne_u32_e32 vcc_lo, v22, v28
	v_and_b32_e32 v9, 7, v15
	v_and_or_b32 v5, 0x8000, v5, v3
	v_and_b32_e32 v14, 0xffff, v4
	v_cndmask_b32_e64 v8, 0, 1, vcc_lo
	v_add_co_u32 v3, vcc_lo, v1, v10
	v_add_co_ci_u32_e32 v4, vcc_lo, v2, v11, vcc_lo
	v_or_b32_e32 v8, v29, v8
	v_lshl_or_b32 v10, v5, 16, v14
	v_lshl_or_b32 v5, v23, 12, v17
	v_fma_f16 v11, v67, v19, -v20
	v_cmp_lt_i32_e32 vcc_lo, 5, v9
	v_cmp_eq_u32_e64 s0, 3, v9
	v_lshrrev_b32_e32 v9, 2, v15
	v_cndmask_b32_e64 v5, v5, v8, s1
	v_cvt_f32_f16_e32 v8, v11
	v_cmp_ne_u32_e64 s1, 0, v6
	s_or_b32 vcc_lo, s0, vcc_lo
	v_bfe_u32 v15, v7, 20, 11
	v_add_co_ci_u32_e32 v11, vcc_lo, 0, v9, vcc_lo
	v_cvt_f64_f32_e32 v[8:9], v8
	v_cmp_ne_u32_e32 vcc_lo, 0, v12
	v_and_b32_e32 v14, 7, v5
	v_lshrrev_b32_e32 v5, 2, v5
	v_cndmask_b32_e64 v6, 0, 1, s1
	v_sub_nc_u32_e32 v19, 0x3f1, v15
	v_cndmask_b32_e64 v12, 0, 1, vcc_lo
	v_cmp_gt_i32_e32 vcc_lo, 31, v25
	v_cmp_eq_u32_e64 s0, 3, v14
	v_add_nc_u32_e32 v20, 0x1000, v55
	v_med3_i32 v19, v19, 0, 13
	v_lshl_or_b32 v12, v12, 9, 0x7c00
	v_cndmask_b32_e32 v11, 0x7c00, v11, vcc_lo
	v_cmp_lt_i32_e32 vcc_lo, 5, v14
	v_lshrrev_b32_e32 v14, 8, v7
	global_store_dword v[3:4], v10, off
	v_lshrrev_b32_e32 v7, 16, v7
	s_mul_hi_u32 s1, s8, 0xfffff200
	s_or_b32 vcc_lo, s0, vcc_lo
	v_and_or_b32 v14, 0xffe, v14, v6
	v_add_co_ci_u32_e32 v16, vcc_lo, 0, v5, vcc_lo
	v_cmp_ne_u32_e32 vcc_lo, 0, v17
	v_mul_f64 v[5:6], v[8:9], s[4:5]
	v_or_b32_e32 v21, 0x1000, v14
	ds_read2_b32 v[8:9], v20 offset0:96 offset1:208
	s_mul_i32 s0, s9, 0xfc0
	v_cndmask_b32_e64 v17, 0, 1, vcc_lo
	v_cmp_gt_i32_e32 vcc_lo, 31, v23
	s_add_i32 s2, s2, s0
	s_sub_i32 s3, s1, s8
	v_lshl_or_b32 v17, v17, 9, 0x7c00
	v_cndmask_b32_e32 v16, 0x7c00, v16, vcc_lo
	v_cmp_eq_u32_e32 vcc_lo, 0x40f, v25
	v_cndmask_b32_e32 v11, v11, v12, vcc_lo
	v_lshrrev_b32_e32 v12, v19, v21
	v_cmp_eq_u32_e32 vcc_lo, 0x40f, v23
	v_and_or_b32 v10, 0x8000, v13, v11
	v_and_or_b32 v5, 0x1ff, v6, v5
	v_cndmask_b32_e32 v16, v16, v17, vcc_lo
	v_lshrrev_b32_e32 v17, 16, v18
	v_lshlrev_b32_e32 v18, v19, v12
	v_bfe_u32 v19, v6, 20, 11
	v_and_or_b32 v13, 0x8000, v17, v16
	v_cmp_ne_u32_e32 vcc_lo, v18, v21
	v_add_nc_u32_e32 v16, 0xfffffc10, v15
	s_waitcnt lgkmcnt(0)
	v_lshrrev_b32_e32 v15, 16, v8
	v_and_b32_e32 v17, 0xffff, v10
	v_lshrrev_b32_e32 v18, 8, v6
	v_cndmask_b32_e64 v11, 0, 1, vcc_lo
	v_cmp_ne_u32_e32 vcc_lo, 0, v5
	v_lshrrev_b32_e32 v6, 16, v6
	v_lshl_or_b32 v17, v13, 16, v17
	v_or_b32_e32 v10, v12, v11
	v_lshl_or_b32 v11, v16, 12, v14
	v_cndmask_b32_e64 v5, 0, 1, vcc_lo
	v_cmp_gt_i32_e32 vcc_lo, 1, v16
	v_mul_f16_sdwa v12, v66, v15 dst_sel:DWORD dst_unused:UNUSED_PAD src0_sel:WORD_1 src1_sel:DWORD
	v_and_or_b32 v5, 0xffe, v18, v5
	v_cndmask_b32_e32 v20, v11, v10, vcc_lo
	v_sub_nc_u32_e32 v10, 0x3f1, v19
	v_fmac_f16_e32 v12, v66, v8
	v_mul_f16_sdwa v8, v66, v8 dst_sel:DWORD dst_unused:UNUSED_PAD src0_sel:WORD_1 src1_sel:DWORD
	v_or_b32_e32 v18, 0x1000, v5
	v_med3_i32 v21, v10, 0, 13
	v_cvt_f32_f16_e32 v11, v12
	v_and_b32_e32 v12, 7, v20
	v_fma_f16 v8, v66, v15, -v8
	v_lshrrev_b32_e32 v13, v21, v18
	v_cvt_f64_f32_e32 v[10:11], v11
	v_cmp_lt_i32_e32 vcc_lo, 5, v12
	v_cmp_eq_u32_e64 s0, 3, v12
	v_lshrrev_b32_e32 v12, 2, v20
	v_lshlrev_b32_e32 v20, v21, v13
	v_cvt_f32_f16_e32 v8, v8
	s_or_b32 vcc_lo, s0, vcc_lo
	v_add_co_ci_u32_e32 v15, vcc_lo, 0, v12, vcc_lo
	v_cmp_ne_u32_e32 vcc_lo, v20, v18
	v_add_nc_u32_e32 v18, 0xfffffc10, v19
	v_add_nc_u32_e32 v20, 0x200, v55
	v_cndmask_b32_e64 v12, 0, 1, vcc_lo
	v_cmp_ne_u32_e32 vcc_lo, 0, v14
	v_or_b32_e32 v19, v13, v12
	v_cvt_f64_f32_e32 v[12:13], v8
	v_cndmask_b32_e64 v14, 0, 1, vcc_lo
	v_cmp_gt_i32_e32 vcc_lo, 31, v16
	v_lshl_or_b32 v8, v18, 12, v5
	v_mul_f64 v[10:11], v[10:11], s[4:5]
	v_lshl_or_b32 v22, v14, 9, 0x7c00
	v_cndmask_b32_e32 v21, 0x7c00, v15, vcc_lo
	v_cmp_gt_i32_e32 vcc_lo, 1, v18
	ds_read2_b32 v[14:15], v20 offset0:96 offset1:208
	v_cndmask_b32_e32 v8, v8, v19, vcc_lo
	v_cmp_eq_u32_e32 vcc_lo, 0x40f, v16
	v_and_b32_e32 v19, 7, v8
	v_cndmask_b32_e32 v16, v21, v22, vcc_lo
	v_add_co_u32 v3, vcc_lo, v3, s7
	v_add_co_ci_u32_e32 v4, vcc_lo, s2, v4, vcc_lo
	v_cmp_lt_i32_e32 vcc_lo, 5, v19
	v_cmp_eq_u32_e64 s0, 3, v19
	v_and_or_b32 v16, 0x8000, v7, v16
	v_lshrrev_b32_e32 v19, 2, v8
	v_mul_f64 v[7:8], v[12:13], s[4:5]
	v_and_or_b32 v10, 0x1ff, v11, v10
	s_or_b32 vcc_lo, s0, vcc_lo
	s_waitcnt lgkmcnt(0)
	v_lshrrev_b32_e32 v13, 16, v14
	v_add_co_ci_u32_e32 v12, vcc_lo, 0, v19, vcc_lo
	v_cmp_ne_u32_e32 vcc_lo, 0, v5
	v_lshrrev_b32_e32 v19, 8, v11
	v_bfe_u32 v20, v11, 20, 11
	v_mul_f16_sdwa v21, v64, v13 dst_sel:DWORD dst_unused:UNUSED_PAD src0_sel:WORD_1 src1_sel:DWORD
	global_store_dword v[3:4], v17, off
	v_cndmask_b32_e64 v5, 0, 1, vcc_lo
	v_cmp_ne_u32_e32 vcc_lo, 0, v10
	s_mul_i32 s0, s9, 0xfffff200
	v_fmac_f16_e32 v21, v64, v14
	v_mul_f16_sdwa v14, v64, v14 dst_sel:DWORD dst_unused:UNUSED_PAD src0_sel:WORD_1 src1_sel:DWORD
	v_lshl_or_b32 v5, v5, 9, 0x7c00
	v_cndmask_b32_e64 v10, 0, 1, vcc_lo
	v_cmp_gt_i32_e32 vcc_lo, 31, v18
	s_add_i32 s3, s3, s0
	v_fma_f16 v13, v64, v13, -v14
	v_and_or_b32 v10, 0xffe, v19, v10
	v_cndmask_b32_e32 v12, 0x7c00, v12, vcc_lo
	v_sub_nc_u32_e32 v19, 0x3f1, v20
	v_cmp_eq_u32_e32 vcc_lo, 0x40f, v18
	v_and_or_b32 v7, 0x1ff, v8, v7
	v_or_b32_e32 v18, 0x1000, v10
	v_lshrrev_b32_e32 v22, 8, v8
	v_med3_i32 v19, v19, 0, 13
	v_cndmask_b32_e32 v5, v12, v5, vcc_lo
	v_cvt_f32_f16_e32 v12, v21
	v_cmp_ne_u32_e32 vcc_lo, 0, v7
	v_bfe_u32 v23, v8, 20, 11
	v_cvt_f32_f16_e32 v13, v13
	v_and_or_b32 v21, 0x8000, v6, v5
	v_cvt_f64_f32_e32 v[5:6], v12
	v_and_b32_e32 v12, 0xffff, v16
	v_lshrrev_b32_e32 v16, v19, v18
	v_cndmask_b32_e64 v7, 0, 1, vcc_lo
	v_lshrrev_b32_e32 v8, 16, v8
	v_lshl_or_b32 v17, v21, 16, v12
	v_lshlrev_b32_e32 v19, v19, v16
	v_and_or_b32 v7, 0xffe, v22, v7
	v_sub_nc_u32_e32 v12, 0x3f1, v23
	v_cmp_ne_u32_e32 vcc_lo, v19, v18
	v_add_nc_u32_e32 v19, 0xfffffc10, v20
	v_or_b32_e32 v20, 0x1000, v7
	v_med3_i32 v12, v12, 0, 13
	v_cndmask_b32_e64 v18, 0, 1, vcc_lo
	v_cmp_gt_i32_e32 vcc_lo, 1, v19
	v_lshrrev_b32_e32 v21, v12, v20
	v_or_b32_e32 v16, v16, v18
	v_lshl_or_b32 v18, v19, 12, v10
	v_mul_f64 v[5:6], v[5:6], s[4:5]
	v_lshlrev_b32_e32 v12, v12, v21
	v_cndmask_b32_e32 v16, v18, v16, vcc_lo
	v_add_nc_u32_e32 v18, 0xfffffc10, v23
	v_cmp_ne_u32_e32 vcc_lo, v12, v20
	v_and_b32_e32 v14, 7, v16
	v_cmp_gt_i32_e64 s1, 1, v18
	v_cndmask_b32_e64 v12, 0, 1, vcc_lo
	v_add_co_u32 v3, vcc_lo, v3, s6
	v_add_co_ci_u32_e32 v4, vcc_lo, s3, v4, vcc_lo
	v_or_b32_e32 v20, v21, v12
	v_cvt_f64_f32_e32 v[12:13], v13
	v_lshl_or_b32 v21, v18, 12, v7
	v_cmp_lt_i32_e32 vcc_lo, 5, v14
	v_cmp_eq_u32_e64 s0, 3, v14
	v_lshrrev_b32_e32 v14, 2, v16
	v_and_or_b32 v5, 0x1ff, v6, v5
	v_cndmask_b32_e64 v16, v21, v20, s1
	v_lshrrev_b32_e32 v20, 8, v6
	s_or_b32 vcc_lo, s0, vcc_lo
	v_bfe_u32 v21, v6, 20, 11
	v_cmp_ne_u32_e64 s1, 0, v5
	v_add_co_ci_u32_e32 v14, vcc_lo, 0, v14, vcc_lo
	v_and_b32_e32 v22, 7, v16
	v_cmp_ne_u32_e32 vcc_lo, 0, v10
	v_cndmask_b32_e64 v5, 0, 1, s1
	v_lshrrev_b32_e32 v16, 2, v16
	v_cmp_gt_i32_e64 s1, 31, v19
	v_cmp_eq_u32_e64 s0, 3, v22
	v_cndmask_b32_e64 v10, 0, 1, vcc_lo
	v_cmp_lt_i32_e32 vcc_lo, 5, v22
	v_and_or_b32 v5, 0xffe, v20, v5
	v_mul_f64 v[12:13], v[12:13], s[4:5]
	v_sub_nc_u32_e32 v20, 0x3f1, v21
	v_cndmask_b32_e64 v14, 0x7c00, v14, s1
	s_or_b32 vcc_lo, s0, vcc_lo
	v_or_b32_e32 v22, 0x1000, v5
	v_add_co_ci_u32_e32 v16, vcc_lo, 0, v16, vcc_lo
	v_med3_i32 v20, v20, 0, 13
	v_lshl_or_b32 v10, v10, 9, 0x7c00
	v_cmp_eq_u32_e32 vcc_lo, 0x40f, v19
	v_lshrrev_b32_e32 v19, 16, v11
	v_add_nc_u32_e32 v21, 0xfffffc10, v21
	v_lshrrev_b32_e32 v23, v20, v22
	v_cndmask_b32_e32 v14, v14, v10, vcc_lo
	v_cmp_gt_i32_e32 vcc_lo, 31, v18
	v_lshlrev_b32_e32 v10, v20, v23
	v_lshrrev_b32_e32 v20, 16, v9
	v_and_or_b32 v14, 0x8000, v19, v14
	v_cndmask_b32_e32 v16, 0x7c00, v16, vcc_lo
	v_cmp_ne_u32_e32 vcc_lo, 0, v7
	v_and_or_b32 v12, 0x1ff, v13, v12
	v_mul_f16_sdwa v11, v63, v20 dst_sel:DWORD dst_unused:UNUSED_PAD src0_sel:WORD_1 src1_sel:DWORD
	v_bfe_u32 v24, v13, 20, 11
	v_and_b32_e32 v14, 0xffff, v14
	v_cndmask_b32_e64 v7, 0, 1, vcc_lo
	v_cmp_ne_u32_e32 vcc_lo, v10, v22
	v_fmac_f16_e32 v11, v63, v9
	v_lshl_or_b32 v22, v21, 12, v5
	v_lshl_or_b32 v7, v7, 9, 0x7c00
	v_cndmask_b32_e64 v10, 0, 1, vcc_lo
	v_cmp_ne_u32_e32 vcc_lo, 0, v12
	v_cvt_f32_f16_e32 v11, v11
	v_or_b32_e32 v10, v23, v10
	v_cndmask_b32_e64 v12, 0, 1, vcc_lo
	v_cmp_gt_i32_e32 vcc_lo, 1, v21
	v_lshrrev_b32_e32 v23, 8, v13
	v_lshrrev_b32_e32 v13, 16, v13
	v_cndmask_b32_e32 v22, v22, v10, vcc_lo
	v_cvt_f64_f32_e32 v[10:11], v11
	v_cmp_eq_u32_e32 vcc_lo, 0x40f, v18
	v_and_or_b32 v12, 0xffe, v23, v12
	v_sub_nc_u32_e32 v23, 0x3f1, v24
	v_cndmask_b32_e32 v7, v16, v7, vcc_lo
	v_or_b32_e32 v18, 0x1000, v12
	v_med3_i32 v23, v23, 0, 13
	v_and_b32_e32 v16, 7, v22
	v_and_or_b32 v19, 0x8000, v8, v7
	v_mul_f16_sdwa v7, v63, v9 dst_sel:DWORD dst_unused:UNUSED_PAD src0_sel:WORD_1 src1_sel:DWORD
	v_lshrrev_b32_e32 v25, v23, v18
	v_cmp_lt_i32_e32 vcc_lo, 5, v16
	v_cmp_eq_u32_e64 s0, 3, v16
	v_lshrrev_b32_e32 v8, 2, v22
	v_fma_f16 v7, v63, v20, -v7
	v_lshlrev_b32_e32 v9, v23, v25
	v_lshl_or_b32 v14, v19, 16, v14
	s_or_b32 vcc_lo, s0, vcc_lo
	v_lshrrev_b32_e32 v19, 16, v6
	v_add_co_ci_u32_e32 v16, vcc_lo, 0, v8, vcc_lo
	v_cvt_f32_f16_e32 v20, v7
	v_cmp_ne_u32_e32 vcc_lo, v9, v18
	v_mul_f64 v[7:8], v[10:11], s[4:5]
	v_add_nc_u32_e32 v11, 0xfffffc10, v24
	v_cvt_f64_f32_e32 v[9:10], v20
	v_cndmask_b32_e64 v18, 0, 1, vcc_lo
	v_cmp_ne_u32_e32 vcc_lo, 0, v5
	v_lshl_or_b32 v20, v11, 12, v12
	v_or_b32_e32 v18, v25, v18
	v_cndmask_b32_e64 v5, 0, 1, vcc_lo
	v_cmp_gt_i32_e32 vcc_lo, 31, v21
	v_lshl_or_b32 v5, v5, 9, 0x7c00
	v_cndmask_b32_e32 v16, 0x7c00, v16, vcc_lo
	v_cmp_gt_i32_e32 vcc_lo, 1, v11
	v_cndmask_b32_e32 v18, v20, v18, vcc_lo
	v_cmp_eq_u32_e32 vcc_lo, 0x40f, v21
	v_and_or_b32 v7, 0x1ff, v8, v7
	v_mul_f64 v[9:10], v[9:10], s[4:5]
	v_and_b32_e32 v20, 7, v18
	v_cndmask_b32_e32 v16, v16, v5, vcc_lo
	v_add_co_u32 v5, vcc_lo, v3, s7
	v_cmp_ne_u32_e64 s1, 0, v7
	v_add_co_ci_u32_e32 v6, vcc_lo, s2, v4, vcc_lo
	v_cmp_lt_i32_e32 vcc_lo, 5, v20
	v_cmp_eq_u32_e64 s0, 3, v20
	v_lshrrev_b32_e32 v18, 2, v18
	v_and_or_b32 v16, 0x8000, v19, v16
	v_cndmask_b32_e64 v7, 0, 1, s1
	v_lshrrev_b32_e32 v19, 8, v8
	v_bfe_u32 v20, v8, 20, 11
	s_or_b32 vcc_lo, s0, vcc_lo
	v_and_b32_e32 v16, 0xffff, v16
	v_add_co_ci_u32_e32 v18, vcc_lo, 0, v18, vcc_lo
	v_and_or_b32 v7, 0xffe, v19, v7
	v_sub_nc_u32_e32 v21, 0x3f1, v20
	v_cmp_ne_u32_e32 vcc_lo, 0, v12
	v_lshrrev_b32_e32 v19, 16, v15
	v_and_or_b32 v9, 0x1ff, v10, v9
	v_or_b32_e32 v22, 0x1000, v7
	v_med3_i32 v21, v21, 0, 13
	v_cndmask_b32_e64 v12, 0, 1, vcc_lo
	v_cmp_gt_i32_e32 vcc_lo, 31, v11
	v_mul_f16_sdwa v23, v62, v19 dst_sel:DWORD dst_unused:UNUSED_PAD src0_sel:WORD_1 src1_sel:DWORD
	v_bfe_u32 v25, v10, 20, 11
	v_lshrrev_b32_e32 v24, v21, v22
	v_lshl_or_b32 v12, v12, 9, 0x7c00
	v_cndmask_b32_e32 v18, 0x7c00, v18, vcc_lo
	v_cmp_eq_u32_e32 vcc_lo, 0x40f, v11
	v_fmac_f16_e32 v23, v62, v15
	v_lshlrev_b32_e32 v21, v21, v24
	v_add_nc_u32_e32 v20, 0xfffffc10, v20
	global_store_dword v[3:4], v17, off
	global_store_dword v[5:6], v14, off
	v_cndmask_b32_e32 v18, v18, v12, vcc_lo
	v_cmp_ne_u32_e32 vcc_lo, 0, v9
	v_cvt_f32_f16_e32 v11, v23
	v_lshrrev_b32_e32 v23, 8, v10
	v_lshrrev_b32_e32 v8, 16, v8
	v_and_or_b32 v13, 0x8000, v13, v18
	v_cndmask_b32_e64 v9, 0, 1, vcc_lo
	v_cmp_ne_u32_e32 vcc_lo, v21, v22
	v_cvt_f64_f32_e32 v[11:12], v11
	v_sub_nc_u32_e32 v22, 0x3f1, v25
	v_lshl_or_b32 v16, v13, 16, v16
	v_and_or_b32 v9, 0xffe, v23, v9
	v_cndmask_b32_e64 v21, 0, 1, vcc_lo
	v_lshl_or_b32 v23, v20, 12, v7
	v_med3_i32 v22, v22, 0, 13
	v_cmp_gt_i32_e32 vcc_lo, 1, v20
	v_lshrrev_b32_e32 v10, 16, v10
	v_or_b32_e32 v21, v24, v21
	v_or_b32_e32 v24, 0x1000, v9
	v_cndmask_b32_e32 v18, v23, v21, vcc_lo
	v_lshrrev_b32_e32 v21, v22, v24
	v_add_co_u32 v5, vcc_lo, v5, s6
	v_add_co_ci_u32_e32 v6, vcc_lo, s3, v6, vcc_lo
	v_lshlrev_b32_e32 v14, v22, v21
	v_and_b32_e32 v13, 7, v18
	v_mul_f64 v[3:4], v[11:12], s[4:5]
	v_mul_f16_sdwa v11, v62, v15 dst_sel:DWORD dst_unused:UNUSED_PAD src0_sel:WORD_1 src1_sel:DWORD
	v_add_nc_u32_e32 v15, 0xfffffc10, v25
	v_cmp_ne_u32_e64 s0, v14, v24
	v_cmp_lt_i32_e32 vcc_lo, 5, v13
	global_store_dword v[5:6], v16, off
	v_fma_f16 v11, v62, v19, -v11
	v_lshl_or_b32 v17, v15, 12, v9
	v_cndmask_b32_e64 v12, 0, 1, s0
	v_cmp_eq_u32_e64 s0, 3, v13
	v_lshrrev_b32_e32 v13, 2, v18
	v_cvt_f32_f16_e32 v11, v11
	v_or_b32_e32 v14, v21, v12
	s_or_b32 vcc_lo, s0, vcc_lo
	v_add_co_ci_u32_e32 v13, vcc_lo, 0, v13, vcc_lo
	v_cmp_ne_u32_e32 vcc_lo, 0, v7
	v_cvt_f64_f32_e32 v[11:12], v11
	v_and_or_b32 v3, 0x1ff, v4, v3
	v_cndmask_b32_e64 v7, 0, 1, vcc_lo
	v_cmp_gt_i32_e32 vcc_lo, 1, v15
	v_lshrrev_b32_e32 v21, 8, v4
	v_bfe_u32 v22, v4, 20, 11
	v_lshl_or_b32 v7, v7, 9, 0x7c00
	v_cndmask_b32_e32 v17, v17, v14, vcc_lo
	v_cmp_gt_i32_e32 vcc_lo, 31, v20
	v_add_nc_u32_e32 v14, 0x1400, v55
	v_and_b32_e32 v19, 7, v17
	v_cndmask_b32_e32 v18, 0x7c00, v13, vcc_lo
	v_cmp_ne_u32_e32 vcc_lo, 0, v3
	ds_read2_b32 v[13:14], v14 offset0:64 offset1:176
	v_lshrrev_b32_e32 v17, 2, v17
	v_cmp_eq_u32_e64 s0, 3, v19
	v_cndmask_b32_e64 v3, 0, 1, vcc_lo
	v_cmp_eq_u32_e32 vcc_lo, 0x40f, v20
	v_mul_f64 v[11:12], v[11:12], s[4:5]
	v_and_or_b32 v3, 0xffe, v21, v3
	v_cndmask_b32_e32 v7, v18, v7, vcc_lo
	v_cmp_lt_i32_e32 vcc_lo, 5, v19
	v_sub_nc_u32_e32 v18, 0x3f1, v22
	v_or_b32_e32 v19, 0x1000, v3
	v_and_or_b32 v24, 0x8000, v8, v7
	s_or_b32 vcc_lo, s0, vcc_lo
	v_med3_i32 v18, v18, 0, 13
	v_add_co_ci_u32_e32 v17, vcc_lo, 0, v17, vcc_lo
	v_cmp_ne_u32_e32 vcc_lo, 0, v9
	s_waitcnt lgkmcnt(0)
	v_lshrrev_b32_e32 v20, 16, v13
	v_lshrrev_b32_e32 v21, v18, v19
	v_cndmask_b32_e64 v9, 0, 1, vcc_lo
	v_cmp_gt_i32_e32 vcc_lo, 31, v15
	v_lshlrev_b32_e32 v7, v18, v21
	v_and_or_b32 v8, 0x1ff, v12, v11
	v_mul_f16_sdwa v23, v61, v20 dst_sel:DWORD dst_unused:UNUSED_PAD src0_sel:WORD_1 src1_sel:DWORD
	v_lshl_or_b32 v9, v9, 9, 0x7c00
	v_cndmask_b32_e32 v17, 0x7c00, v17, vcc_lo
	v_cmp_eq_u32_e32 vcc_lo, 0x40f, v15
	v_lshrrev_b32_e32 v18, 8, v12
	v_fmac_f16_e32 v23, v61, v13
	v_mul_f16_sdwa v13, v61, v13 dst_sel:DWORD dst_unused:UNUSED_PAD src0_sel:WORD_1 src1_sel:DWORD
	v_cndmask_b32_e32 v9, v17, v9, vcc_lo
	v_cmp_ne_u32_e32 vcc_lo, v7, v19
	v_add_nc_u32_e32 v17, 0xfffffc10, v22
	v_bfe_u32 v19, v12, 20, 11
	v_cvt_f32_f16_e32 v7, v23
	v_and_or_b32 v9, 0x8000, v10, v9
	v_cndmask_b32_e64 v11, 0, 1, vcc_lo
	v_cmp_ne_u32_e32 vcc_lo, 0, v8
	v_and_b32_e32 v10, 0xffff, v24
	v_cvt_f64_f32_e32 v[7:8], v7
	v_lshrrev_b32_e32 v12, 16, v12
	v_or_b32_e32 v11, v21, v11
	v_cndmask_b32_e64 v15, 0, 1, vcc_lo
	v_lshl_or_b32 v21, v17, 12, v3
	v_cmp_gt_i32_e32 vcc_lo, 1, v17
	v_lshl_or_b32 v23, v9, 16, v10
	v_fma_f16 v9, v61, v20, -v13
	v_and_or_b32 v18, 0xffe, v18, v15
	v_sub_nc_u32_e32 v15, 0x3f1, v19
	v_cndmask_b32_e32 v11, v21, v11, vcc_lo
	v_add_nc_u32_e32 v19, 0xfffffc10, v19
	v_cvt_f32_f16_e32 v9, v9
	v_or_b32_e32 v21, 0x1000, v18
	v_med3_i32 v15, v15, 0, 13
	v_and_b32_e32 v22, 7, v11
	v_lshrrev_b32_e32 v10, 2, v11
	v_lshl_or_b32 v20, v19, 12, v18
	v_lshrrev_b32_e32 v16, v15, v21
	v_cmp_lt_i32_e32 vcc_lo, 5, v22
	v_cmp_eq_u32_e64 s0, 3, v22
	v_mul_f64 v[7:8], v[7:8], s[4:5]
	v_lshlrev_b32_e32 v11, v15, v16
	v_add_nc_u32_e32 v15, 0x600, v55
	s_or_b32 vcc_lo, s0, vcc_lo
	v_add_co_ci_u32_e32 v13, vcc_lo, 0, v10, vcc_lo
	v_cmp_ne_u32_e32 vcc_lo, v11, v21
	v_cvt_f64_f32_e32 v[9:10], v9
	v_cndmask_b32_e64 v11, 0, 1, vcc_lo
	v_cmp_ne_u32_e32 vcc_lo, 0, v3
	v_or_b32_e32 v11, v16, v11
	v_cndmask_b32_e64 v3, 0, 1, vcc_lo
	v_cmp_gt_i32_e32 vcc_lo, 31, v17
	ds_read2_b32 v[15:16], v15 offset0:64 offset1:176
	v_and_or_b32 v7, 0x1ff, v8, v7
	v_bfe_u32 v21, v8, 20, 11
	v_lshl_or_b32 v3, v3, 9, 0x7c00
	v_cndmask_b32_e32 v13, 0x7c00, v13, vcc_lo
	v_cmp_gt_i32_e32 vcc_lo, 1, v19
	v_cmp_ne_u32_e64 s0, 0, v7
	v_cndmask_b32_e32 v11, v20, v11, vcc_lo
	v_add_co_u32 v5, vcc_lo, v5, s7
	v_add_co_ci_u32_e32 v6, vcc_lo, s2, v6, vcc_lo
	v_cmp_eq_u32_e32 vcc_lo, 0x40f, v17
	v_lshrrev_b32_e32 v17, 16, v4
	v_and_b32_e32 v20, 7, v11
	v_cndmask_b32_e64 v7, 0, 1, s0
	global_store_dword v[5:6], v23, off
	v_cndmask_b32_e32 v13, v13, v3, vcc_lo
	v_mul_f64 v[3:4], v[9:10], s[4:5]
	v_cmp_lt_i32_e32 vcc_lo, 5, v20
	v_cmp_eq_u32_e64 s0, 3, v20
	s_waitcnt lgkmcnt(0)
	v_lshrrev_b32_e32 v22, 16, v15
	v_lshrrev_b32_e32 v10, 2, v11
	;; [unrolled: 1-line block ×3, first 2 shown]
	v_and_or_b32 v13, 0x8000, v17, v13
	s_or_b32 vcc_lo, s0, vcc_lo
	v_mul_f16_sdwa v11, v60, v22 dst_sel:DWORD dst_unused:UNUSED_PAD src0_sel:WORD_1 src1_sel:DWORD
	v_add_co_ci_u32_e32 v10, vcc_lo, 0, v10, vcc_lo
	v_and_or_b32 v7, 0xffe, v9, v7
	v_sub_nc_u32_e32 v9, 0x3f1, v21
	v_cmp_gt_i32_e32 vcc_lo, 31, v19
	v_fmac_f16_e32 v11, v60, v15
	v_add_nc_u32_e32 v21, 0xfffffc10, v21
	v_or_b32_e32 v20, 0x1000, v7
	v_med3_i32 v24, v9, 0, 13
	v_cndmask_b32_e32 v17, 0x7c00, v10, vcc_lo
	v_cmp_ne_u32_e32 vcc_lo, 0, v18
	v_cvt_f32_f16_e32 v9, v11
	v_and_b32_e32 v13, 0xffff, v13
	v_and_or_b32 v3, 0x1ff, v4, v3
	v_lshrrev_b32_e32 v11, v24, v20
	v_cndmask_b32_e64 v18, 0, 1, vcc_lo
	v_cvt_f64_f32_e32 v[9:10], v9
	v_lshrrev_b32_e32 v25, 8, v4
	v_cmp_ne_u32_e32 vcc_lo, 0, v3
	v_lshlrev_b32_e32 v24, v24, v11
	v_bfe_u32 v26, v4, 20, 11
	v_lshl_or_b32 v18, v18, 9, 0x7c00
	v_mul_f16_sdwa v15, v60, v15 dst_sel:DWORD dst_unused:UNUSED_PAD src0_sel:WORD_1 src1_sel:DWORD
	v_cndmask_b32_e64 v3, 0, 1, vcc_lo
	v_cmp_ne_u32_e32 vcc_lo, v24, v20
	v_sub_nc_u32_e32 v24, 0x3f1, v26
	v_cmp_eq_u32_e64 s1, 0x40f, v21
	v_lshrrev_b32_e32 v8, 16, v8
	v_and_or_b32 v3, 0xffe, v25, v3
	v_cndmask_b32_e64 v20, 0, 1, vcc_lo
	v_med3_i32 v24, v24, 0, 13
	v_cmp_eq_u32_e32 vcc_lo, 0x40f, v19
	v_or_b32_e32 v25, 0x1000, v3
	v_or_b32_e32 v11, v11, v20
	v_lshl_or_b32 v20, v21, 12, v7
	v_cndmask_b32_e32 v17, v17, v18, vcc_lo
	v_cmp_gt_i32_e32 vcc_lo, 1, v21
	v_lshrrev_b32_e32 v18, v24, v25
	v_mul_f64 v[9:10], v[9:10], s[4:5]
	v_and_or_b32 v12, 0x8000, v12, v17
	v_cndmask_b32_e32 v11, v20, v11, vcc_lo
	v_lshlrev_b32_e32 v19, v24, v18
	v_lshl_or_b32 v13, v12, 16, v13
	v_and_b32_e32 v17, 7, v11
	v_cmp_ne_u32_e64 s0, v19, v25
	v_fma_f16 v12, v60, v22, -v15
	v_add_nc_u32_e32 v19, 0xfffffc10, v26
	v_cmp_lt_i32_e32 vcc_lo, 5, v17
	v_cndmask_b32_e64 v15, 0, 1, s0
	v_cmp_eq_u32_e64 s0, 3, v17
	v_cvt_f32_f16_e32 v12, v12
	v_lshrrev_b32_e32 v17, 2, v11
	v_or_b32_e32 v15, v18, v15
	s_or_b32 vcc_lo, s0, vcc_lo
	v_cvt_f64_f32_e32 v[11:12], v12
	v_add_co_ci_u32_e32 v17, vcc_lo, 0, v17, vcc_lo
	v_lshl_or_b32 v18, v19, 12, v3
	v_cmp_gt_i32_e32 vcc_lo, 1, v19
	v_and_or_b32 v9, 0x1ff, v10, v9
	v_bfe_u32 v22, v10, 20, 11
	v_cndmask_b32_e32 v15, v18, v15, vcc_lo
	v_cmp_ne_u32_e32 vcc_lo, 0, v7
	v_lshrrev_b32_e32 v18, 8, v10
	v_lshrrev_b32_e32 v10, 16, v10
	v_and_b32_e32 v20, 7, v15
	v_cndmask_b32_e64 v7, 0, 1, vcc_lo
	v_cmp_ne_u32_e32 vcc_lo, 0, v9
	v_lshrrev_b32_e32 v15, 2, v15
	v_cmp_eq_u32_e64 s0, 3, v20
	v_lshl_or_b32 v7, v7, 9, 0x7c00
	v_cndmask_b32_e64 v9, 0, 1, vcc_lo
	v_cmp_gt_i32_e32 vcc_lo, 31, v21
	v_mul_f64 v[11:12], v[11:12], s[4:5]
	v_lshrrev_b32_e32 v21, 16, v14
	v_and_or_b32 v9, 0xffe, v18, v9
	v_sub_nc_u32_e32 v18, 0x3f1, v22
	v_cndmask_b32_e32 v17, 0x7c00, v17, vcc_lo
	v_cmp_lt_i32_e32 vcc_lo, 5, v20
	v_or_b32_e32 v20, 0x1000, v9
	v_med3_i32 v18, v18, 0, 13
	v_cndmask_b32_e64 v7, v17, v7, s1
	s_or_b32 vcc_lo, s0, vcc_lo
	v_add_co_ci_u32_e32 v15, vcc_lo, 0, v15, vcc_lo
	v_lshrrev_b32_e32 v17, v18, v20
	v_cmp_gt_i32_e32 vcc_lo, 31, v19
	v_and_or_b32 v23, 0x8000, v8, v7
	v_mul_f16_sdwa v8, v59, v21 dst_sel:DWORD dst_unused:UNUSED_PAD src0_sel:WORD_1 src1_sel:DWORD
	v_lshlrev_b32_e32 v7, v18, v17
	v_cndmask_b32_e32 v15, 0x7c00, v15, vcc_lo
	v_cmp_ne_u32_e32 vcc_lo, 0, v3
	v_and_or_b32 v11, 0x1ff, v12, v11
	v_fmac_f16_e32 v8, v59, v14
	v_add_nc_u32_e32 v18, 0xfffffc10, v22
	v_lshrrev_b32_e32 v22, 8, v12
	v_cndmask_b32_e64 v3, 0, 1, vcc_lo
	v_cmp_ne_u32_e32 vcc_lo, v7, v20
	v_bfe_u32 v24, v12, 20, 11
	v_lshl_or_b32 v20, v18, 12, v9
	v_and_b32_e32 v23, 0xffff, v23
	v_lshl_or_b32 v3, v3, 9, 0x7c00
	v_cndmask_b32_e64 v7, 0, 1, vcc_lo
	v_cmp_ne_u32_e32 vcc_lo, 0, v11
	v_lshrrev_b32_e32 v12, 16, v12
	v_or_b32_e32 v17, v17, v7
	v_cvt_f32_f16_e32 v7, v8
	v_cndmask_b32_e64 v11, 0, 1, vcc_lo
	v_cmp_gt_i32_e32 vcc_lo, 1, v18
	v_cvt_f64_f32_e32 v[7:8], v7
	v_and_or_b32 v11, 0xffe, v22, v11
	v_cndmask_b32_e32 v17, v20, v17, vcc_lo
	v_sub_nc_u32_e32 v20, 0x3f1, v24
	v_cmp_eq_u32_e32 vcc_lo, 0x40f, v19
	v_lshrrev_b32_e32 v19, 16, v4
	v_or_b32_e32 v25, 0x1000, v11
	v_and_b32_e32 v22, 7, v17
	v_med3_i32 v20, v20, 0, 13
	v_cndmask_b32_e32 v15, v15, v3, vcc_lo
	v_add_co_u32 v3, vcc_lo, v5, s6
	v_add_co_ci_u32_e32 v4, vcc_lo, s3, v6, vcc_lo
	v_and_or_b32 v15, 0x8000, v19, v15
	v_lshrrev_b32_e32 v19, v20, v25
	v_cmp_lt_i32_e32 vcc_lo, 5, v22
	v_cmp_eq_u32_e64 s0, 3, v22
	v_lshrrev_b32_e32 v17, 2, v17
	global_store_dword v[3:4], v13, off
	v_lshlrev_b32_e32 v20, v20, v19
	v_lshl_or_b32 v13, v15, 16, v23
	s_or_b32 vcc_lo, s0, vcc_lo
	v_mul_f64 v[5:6], v[7:8], s[4:5]
	v_add_co_ci_u32_e32 v8, vcc_lo, 0, v17, vcc_lo
	v_cmp_ne_u32_e32 vcc_lo, v20, v25
	v_mul_f16_sdwa v7, v59, v14 dst_sel:DWORD dst_unused:UNUSED_PAD src0_sel:WORD_1 src1_sel:DWORD
	v_add_nc_u32_e32 v17, 0xfffffc10, v24
	v_cndmask_b32_e64 v14, 0, 1, vcc_lo
	v_cmp_ne_u32_e32 vcc_lo, 0, v9
	v_fma_f16 v7, v59, v21, -v7
	v_or_b32_e32 v14, v19, v14
	v_cndmask_b32_e64 v9, 0, 1, vcc_lo
	v_cmp_gt_i32_e32 vcc_lo, 31, v18
	v_cvt_f32_f16_e32 v7, v7
	v_lshl_or_b32 v19, v17, 12, v11
	v_lshl_or_b32 v9, v9, 9, 0x7c00
	v_cndmask_b32_e32 v20, 0x7c00, v8, vcc_lo
	v_cmp_gt_i32_e32 vcc_lo, 1, v17
	v_cvt_f64_f32_e32 v[7:8], v7
	v_and_or_b32 v5, 0x1ff, v6, v5
	v_cndmask_b32_e32 v14, v19, v14, vcc_lo
	v_cmp_eq_u32_e32 vcc_lo, 0x40f, v18
	v_cmp_ne_u32_e64 s1, 0, v5
	v_bfe_u32 v18, v6, 20, 11
	v_lshrrev_b32_e32 v19, 16, v16
	v_and_b32_e32 v15, 7, v14
	v_cndmask_b32_e32 v9, v20, v9, vcc_lo
	v_lshrrev_b32_e32 v14, 2, v14
	v_cndmask_b32_e64 v5, 0, 1, s1
	v_mul_f16_sdwa v21, v58, v19 dst_sel:DWORD dst_unused:UNUSED_PAD src0_sel:WORD_1 src1_sel:DWORD
	v_cmp_lt_i32_e32 vcc_lo, 5, v15
	v_cmp_eq_u32_e64 s0, 3, v15
	v_lshrrev_b32_e32 v15, 8, v6
	v_fmac_f16_e32 v21, v58, v16
	s_or_b32 vcc_lo, s0, vcc_lo
	v_and_or_b32 v5, 0xffe, v15, v5
	v_add_co_ci_u32_e32 v14, vcc_lo, 0, v14, vcc_lo
	v_cmp_ne_u32_e32 vcc_lo, 0, v11
	v_mul_f64 v[7:8], v[7:8], s[4:5]
	v_sub_nc_u32_e32 v15, 0x3f1, v18
	v_or_b32_e32 v20, 0x1000, v5
	v_cndmask_b32_e64 v11, 0, 1, vcc_lo
	v_cmp_gt_i32_e32 vcc_lo, 31, v17
	v_med3_i32 v15, v15, 0, 13
	v_lshl_or_b32 v11, v11, 9, 0x7c00
	v_cndmask_b32_e32 v14, 0x7c00, v14, vcc_lo
	v_cmp_eq_u32_e32 vcc_lo, 0x40f, v17
	v_and_or_b32 v17, 0x8000, v10, v9
	v_cvt_f32_f16_e32 v9, v21
	v_cndmask_b32_e32 v11, v14, v11, vcc_lo
	v_lshrrev_b32_e32 v14, v15, v20
	v_add_co_u32 v3, vcc_lo, v3, s7
	v_add_co_ci_u32_e32 v4, vcc_lo, s2, v4, vcc_lo
	v_lshlrev_b32_e32 v15, v15, v14
	v_and_or_b32 v7, 0x1ff, v8, v7
	v_and_or_b32 v11, 0x8000, v12, v11
	v_cvt_f64_f32_e32 v[9:10], v9
	v_and_b32_e32 v17, 0xffff, v17
	v_cmp_ne_u32_e32 vcc_lo, v15, v20
	v_add_nc_u32_e32 v15, 0xfffffc10, v18
	v_lshrrev_b32_e32 v18, 8, v8
	v_bfe_u32 v20, v8, 20, 11
	v_lshl_or_b32 v17, v11, 16, v17
	v_cndmask_b32_e64 v12, 0, 1, vcc_lo
	v_cmp_ne_u32_e32 vcc_lo, 0, v7
	global_store_dword v[3:4], v13, off
	v_lshrrev_b32_e32 v8, 16, v8
	v_or_b32_e32 v12, v14, v12
	v_cndmask_b32_e64 v7, 0, 1, vcc_lo
	v_lshl_or_b32 v14, v15, 12, v5
	v_cmp_gt_i32_e32 vcc_lo, 1, v15
	v_and_or_b32 v7, 0xffe, v18, v7
	v_sub_nc_u32_e32 v18, 0x3f1, v20
	v_cndmask_b32_e32 v14, v14, v12, vcc_lo
	v_add_co_u32 v11, vcc_lo, v3, s6
	v_or_b32_e32 v21, 0x1000, v7
	v_med3_i32 v18, v18, 0, 13
	v_and_b32_e32 v23, 7, v14
	v_add_co_ci_u32_e32 v12, vcc_lo, s3, v4, vcc_lo
	v_mul_f64 v[3:4], v[9:10], s[4:5]
	v_lshrrev_b32_e32 v22, v18, v21
	v_cmp_lt_i32_e32 vcc_lo, 5, v23
	v_cmp_eq_u32_e64 s0, 3, v23
	v_lshrrev_b32_e32 v13, 2, v14
	v_mul_f16_sdwa v10, v58, v16 dst_sel:DWORD dst_unused:UNUSED_PAD src0_sel:WORD_1 src1_sel:DWORD
	v_lshlrev_b32_e32 v9, v18, v22
	v_add_nc_u32_e32 v16, 0xfffffc10, v20
	s_or_b32 vcc_lo, s0, vcc_lo
	global_store_dword v[11:12], v17, off
	v_add_co_ci_u32_e32 v13, vcc_lo, 0, v13, vcc_lo
	v_cmp_ne_u32_e64 s1, v9, v21
	v_fma_f16 v10, v58, v19, -v10
	v_cmp_ne_u32_e32 vcc_lo, 0, v5
	v_lshl_or_b32 v14, v16, 12, v7
	v_cndmask_b32_e64 v9, 0, 1, s1
	v_cvt_f32_f16_e32 v10, v10
	v_cndmask_b32_e64 v5, 0, 1, vcc_lo
	v_cmp_gt_i32_e32 vcc_lo, 1, v16
	v_or_b32_e32 v9, v22, v9
	v_and_or_b32 v3, 0x1ff, v4, v3
	v_lshl_or_b32 v5, v5, 9, 0x7c00
	v_bfe_u32 v21, v4, 20, 11
	v_lshrrev_b32_e32 v20, 8, v4
	v_cndmask_b32_e32 v17, v14, v9, vcc_lo
	v_cvt_f64_f32_e32 v[9:10], v10
	v_cmp_gt_i32_e32 vcc_lo, 31, v15
	v_add_nc_u32_e32 v14, 0x1800, v55
	v_and_b32_e32 v19, 7, v17
	v_lshrrev_b32_e32 v17, 2, v17
	v_cndmask_b32_e32 v18, 0x7c00, v13, vcc_lo
	v_cmp_ne_u32_e32 vcc_lo, 0, v3
	ds_read2_b32 v[13:14], v14 offset0:32 offset1:144
	v_cmp_eq_u32_e64 s0, 3, v19
	v_cndmask_b32_e64 v3, 0, 1, vcc_lo
	v_cmp_eq_u32_e32 vcc_lo, 0x40f, v15
	v_and_or_b32 v3, 0xffe, v20, v3
	v_cndmask_b32_e32 v15, v18, v5, vcc_lo
	v_sub_nc_u32_e32 v5, 0x3f1, v21
	v_cmp_lt_i32_e32 vcc_lo, 5, v19
	v_lshrrev_b32_e32 v18, 16, v6
	v_or_b32_e32 v19, 0x1000, v3
	v_med3_i32 v20, v5, 0, 13
	v_mul_f64 v[5:6], v[9:10], s[4:5]
	s_or_b32 vcc_lo, s0, vcc_lo
	v_and_or_b32 v15, 0x8000, v18, v15
	v_add_co_ci_u32_e32 v9, vcc_lo, 0, v17, vcc_lo
	v_cmp_ne_u32_e32 vcc_lo, 0, v7
	s_waitcnt lgkmcnt(0)
	v_lshrrev_b32_e32 v10, 16, v13
	v_lshrrev_b32_e32 v17, v20, v19
	v_and_b32_e32 v15, 0xffff, v15
	v_cndmask_b32_e64 v7, 0, 1, vcc_lo
	v_cmp_gt_i32_e32 vcc_lo, 31, v16
	v_mul_f16_sdwa v22, v57, v10 dst_sel:DWORD dst_unused:UNUSED_PAD src0_sel:WORD_1 src1_sel:DWORD
	v_lshlrev_b32_e32 v18, v20, v17
	v_lshl_or_b32 v7, v7, 9, 0x7c00
	v_cndmask_b32_e32 v9, 0x7c00, v9, vcc_lo
	v_cmp_eq_u32_e32 vcc_lo, 0x40f, v16
	v_fmac_f16_e32 v22, v57, v13
	v_mul_f16_sdwa v13, v57, v13 dst_sel:DWORD dst_unused:UNUSED_PAD src0_sel:WORD_1 src1_sel:DWORD
	v_cndmask_b32_e32 v7, v9, v7, vcc_lo
	v_cmp_ne_u32_e32 vcc_lo, v18, v19
	v_and_or_b32 v5, 0x1ff, v6, v5
	v_add_nc_u32_e32 v18, 0xfffffc10, v21
	v_cvt_f32_f16_e32 v16, v22
	v_and_or_b32 v19, 0x8000, v8, v7
	v_cndmask_b32_e64 v9, 0, 1, vcc_lo
	v_cmp_ne_u32_e32 vcc_lo, 0, v5
	v_bfe_u32 v20, v6, 20, 11
	v_cvt_f64_f32_e32 v[7:8], v16
	v_lshrrev_b32_e32 v16, 8, v6
	v_or_b32_e32 v9, v17, v9
	v_lshl_or_b32 v17, v18, 12, v3
	v_cndmask_b32_e64 v5, 0, 1, vcc_lo
	v_cmp_gt_i32_e32 vcc_lo, 1, v18
	v_lshl_or_b32 v19, v19, 16, v15
	v_fma_f16 v13, v57, v10, -v13
	v_lshrrev_b32_e32 v6, 16, v6
	v_and_or_b32 v5, 0xffe, v16, v5
	v_cndmask_b32_e32 v17, v17, v9, vcc_lo
	v_sub_nc_u32_e32 v9, 0x3f1, v20
	v_add_nc_u32_e32 v20, 0xfffffc10, v20
	v_or_b32_e32 v16, 0x1000, v5
	v_and_b32_e32 v15, 7, v17
	v_med3_i32 v21, v9, 0, 13
	v_add_co_u32 v9, vcc_lo, v11, s7
	v_add_co_ci_u32_e32 v10, vcc_lo, s2, v12, vcc_lo
	v_lshrrev_b32_e32 v22, v21, v16
	v_cmp_lt_i32_e32 vcc_lo, 5, v15
	v_cmp_eq_u32_e64 s0, 3, v15
	v_cvt_f32_f16_e32 v11, v13
	v_lshrrev_b32_e32 v13, 2, v17
	v_lshlrev_b32_e32 v15, v21, v22
	v_mul_f64 v[7:8], v[7:8], s[4:5]
	s_or_b32 vcc_lo, s0, vcc_lo
	v_cvt_f64_f32_e32 v[11:12], v11
	v_add_co_ci_u32_e32 v13, vcc_lo, 0, v13, vcc_lo
	v_cmp_ne_u32_e32 vcc_lo, v15, v16
	v_add_nc_u32_e32 v17, 0xa00, v55
	global_store_dword v[9:10], v19, off
	v_cndmask_b32_e64 v21, 0, 1, vcc_lo
	v_cmp_ne_u32_e32 vcc_lo, 0, v3
	ds_read2_b32 v[15:16], v17 offset0:32 offset1:144
	v_or_b32_e32 v17, v22, v21
	v_cndmask_b32_e64 v3, 0, 1, vcc_lo
	v_cmp_gt_i32_e32 vcc_lo, 31, v18
	v_lshl_or_b32 v21, v20, 12, v5
	v_lshl_or_b32 v3, v3, 9, 0x7c00
	v_cndmask_b32_e32 v13, 0x7c00, v13, vcc_lo
	v_cmp_gt_i32_e32 vcc_lo, 1, v20
	v_and_or_b32 v7, 0x1ff, v8, v7
	v_bfe_u32 v22, v8, 20, 11
	v_cndmask_b32_e32 v17, v21, v17, vcc_lo
	v_cmp_eq_u32_e32 vcc_lo, 0x40f, v18
	v_lshrrev_b32_e32 v18, 16, v4
	s_waitcnt lgkmcnt(0)
	v_lshrrev_b32_e32 v23, 16, v15
	v_and_b32_e32 v21, 7, v17
	v_cndmask_b32_e32 v13, v13, v3, vcc_lo
	v_mul_f64 v[3:4], v[11:12], s[4:5]
	v_cmp_ne_u32_e32 vcc_lo, 0, v7
	v_lshrrev_b32_e32 v11, 8, v8
	v_cmp_eq_u32_e64 s0, 3, v21
	v_lshrrev_b32_e32 v17, 2, v17
	v_mul_f16_sdwa v12, v56, v23 dst_sel:DWORD dst_unused:UNUSED_PAD src0_sel:WORD_1 src1_sel:DWORD
	v_cndmask_b32_e64 v7, 0, 1, vcc_lo
	v_cmp_lt_i32_e32 vcc_lo, 5, v21
	v_and_or_b32 v13, 0x8000, v18, v13
	v_fmac_f16_e32 v12, v56, v15
	v_and_or_b32 v7, 0xffe, v11, v7
	v_sub_nc_u32_e32 v11, 0x3f1, v22
	s_or_b32 vcc_lo, s0, vcc_lo
	v_and_b32_e32 v13, 0xffff, v13
	v_cvt_f32_f16_e32 v12, v12
	v_or_b32_e32 v18, 0x1000, v7
	v_med3_i32 v21, v11, 0, 13
	v_add_co_ci_u32_e32 v11, vcc_lo, 0, v17, vcc_lo
	v_cmp_ne_u32_e32 vcc_lo, 0, v5
	v_mul_f16_sdwa v15, v56, v15 dst_sel:DWORD dst_unused:UNUSED_PAD src0_sel:WORD_1 src1_sel:DWORD
	v_and_or_b32 v3, 0x1ff, v4, v3
	v_lshrrev_b32_e32 v17, v21, v18
	v_lshrrev_b32_e32 v25, 8, v4
	v_cndmask_b32_e64 v5, 0, 1, vcc_lo
	v_cmp_gt_i32_e32 vcc_lo, 31, v20
	v_bfe_u32 v26, v4, 20, 11
	v_lshlrev_b32_e32 v21, v21, v17
	v_fma_f16 v15, v56, v23, -v15
	v_lshl_or_b32 v5, v5, 9, 0x7c00
	v_cndmask_b32_e32 v24, 0x7c00, v11, vcc_lo
	v_cmp_ne_u32_e32 vcc_lo, 0, v3
	v_cvt_f64_f32_e32 v[11:12], v12
	v_cvt_f32_f16_e32 v15, v15
	v_lshrrev_b32_e32 v4, 16, v4
	v_cndmask_b32_e64 v3, 0, 1, vcc_lo
	v_cmp_eq_u32_e32 vcc_lo, 0x40f, v20
	v_sub_nc_u32_e32 v20, 0x3f1, v26
	v_and_or_b32 v3, 0xffe, v25, v3
	v_cndmask_b32_e32 v5, v24, v5, vcc_lo
	v_cmp_ne_u32_e32 vcc_lo, v21, v18
	v_add_nc_u32_e32 v21, 0xfffffc10, v22
	v_med3_i32 v20, v20, 0, 13
	v_or_b32_e32 v22, 0x1000, v3
	v_and_or_b32 v24, 0x8000, v6, v5
	v_cndmask_b32_e64 v18, 0, 1, vcc_lo
	v_cmp_gt_i32_e32 vcc_lo, 1, v21
	v_lshrrev_b32_e32 v25, v20, v22
	v_or_b32_e32 v17, v17, v18
	v_lshl_or_b32 v18, v21, 12, v7
	v_mul_f64 v[5:6], v[11:12], s[4:5]
	v_lshlrev_b32_e32 v12, v20, v25
	v_lshl_or_b32 v11, v24, 16, v13
	v_cndmask_b32_e32 v13, v18, v17, vcc_lo
	v_add_co_u32 v9, vcc_lo, v9, s6
	v_add_co_ci_u32_e32 v10, vcc_lo, s3, v10, vcc_lo
	v_cmp_ne_u32_e32 vcc_lo, v12, v22
	v_add_nc_u32_e32 v18, 0xfffffc10, v26
	v_and_b32_e32 v17, 7, v13
	global_store_dword v[9:10], v11, off
	v_lshrrev_b32_e32 v13, 2, v13
	v_cndmask_b32_e64 v12, 0, 1, vcc_lo
	v_lshl_or_b32 v20, v18, 12, v3
	v_cmp_gt_i32_e64 s1, 1, v18
	v_cmp_lt_i32_e32 vcc_lo, 5, v17
	v_cmp_eq_u32_e64 s0, 3, v17
	v_or_b32_e32 v19, v25, v12
	v_cvt_f64_f32_e32 v[11:12], v15
	v_and_or_b32 v5, 0x1ff, v6, v5
	s_or_b32 vcc_lo, s0, vcc_lo
	v_cndmask_b32_e64 v15, v20, v19, s1
	v_add_co_ci_u32_e32 v13, vcc_lo, 0, v13, vcc_lo
	v_cmp_ne_u32_e64 s1, 0, v5
	v_cmp_ne_u32_e32 vcc_lo, 0, v7
	v_and_b32_e32 v20, 7, v15
	v_lshrrev_b32_e32 v17, 8, v6
	v_bfe_u32 v19, v6, 20, 11
	v_cndmask_b32_e64 v5, 0, 1, s1
	v_cndmask_b32_e64 v7, 0, 1, vcc_lo
	v_cmp_lt_i32_e32 vcc_lo, 5, v20
	v_cmp_eq_u32_e64 s0, 3, v20
	v_lshrrev_b32_e32 v15, 2, v15
	v_and_or_b32 v5, 0xffe, v17, v5
	v_sub_nc_u32_e32 v17, 0x3f1, v19
	v_cmp_gt_i32_e64 s1, 31, v21
	s_or_b32 vcc_lo, s0, vcc_lo
	v_lshl_or_b32 v7, v7, 9, 0x7c00
	v_mul_f64 v[11:12], v[11:12], s[4:5]
	v_add_co_ci_u32_e32 v15, vcc_lo, 0, v15, vcc_lo
	v_or_b32_e32 v20, 0x1000, v5
	v_med3_i32 v17, v17, 0, 13
	v_cndmask_b32_e64 v13, 0x7c00, v13, s1
	v_cmp_eq_u32_e32 vcc_lo, 0x40f, v21
	v_lshrrev_b32_e32 v21, 16, v8
	v_add_nc_u32_e32 v19, 0xfffffc10, v19
	v_lshrrev_b32_e32 v22, v17, v20
	v_cndmask_b32_e32 v13, v13, v7, vcc_lo
	v_cmp_gt_i32_e32 vcc_lo, 31, v18
	v_lshlrev_b32_e32 v7, v17, v22
	v_lshrrev_b32_e32 v17, 16, v14
	v_and_or_b32 v13, 0x8000, v21, v13
	v_cndmask_b32_e32 v15, 0x7c00, v15, vcc_lo
	v_cmp_ne_u32_e32 vcc_lo, 0, v3
	v_mul_f16_sdwa v8, v54, v17 dst_sel:DWORD dst_unused:UNUSED_PAD src0_sel:WORD_1 src1_sel:DWORD
	v_and_b32_e32 v13, 0xffff, v13
	v_and_or_b32 v11, 0x1ff, v12, v11
	v_cndmask_b32_e64 v3, 0, 1, vcc_lo
	v_cmp_ne_u32_e32 vcc_lo, v7, v20
	v_fmac_f16_e32 v8, v54, v14
	v_lshl_or_b32 v20, v19, 12, v5
	v_bfe_u32 v23, v12, 20, 11
	v_lshl_or_b32 v3, v3, 9, 0x7c00
	v_cndmask_b32_e64 v7, 0, 1, vcc_lo
	v_cmp_ne_u32_e32 vcc_lo, 0, v11
	v_cvt_f32_f16_e32 v8, v8
	v_or_b32_e32 v7, v22, v7
	v_cndmask_b32_e64 v11, 0, 1, vcc_lo
	v_cmp_gt_i32_e32 vcc_lo, 1, v19
	v_lshrrev_b32_e32 v22, 8, v12
	v_lshrrev_b32_e32 v12, 16, v12
	v_cndmask_b32_e32 v20, v20, v7, vcc_lo
	v_cvt_f64_f32_e32 v[7:8], v8
	v_cmp_eq_u32_e32 vcc_lo, 0x40f, v18
	v_and_or_b32 v11, 0xffe, v22, v11
	v_sub_nc_u32_e32 v22, 0x3f1, v23
	v_cndmask_b32_e32 v3, v15, v3, vcc_lo
	v_or_b32_e32 v18, 0x1000, v11
	v_med3_i32 v22, v22, 0, 13
	v_and_b32_e32 v15, 7, v20
	v_and_or_b32 v21, 0x8000, v4, v3
	v_mul_f16_sdwa v3, v54, v14 dst_sel:DWORD dst_unused:UNUSED_PAD src0_sel:WORD_1 src1_sel:DWORD
	v_lshrrev_b32_e32 v14, v22, v18
	v_cmp_lt_i32_e32 vcc_lo, 5, v15
	v_cmp_eq_u32_e64 s0, 3, v15
	v_lshrrev_b32_e32 v4, 2, v20
	v_fma_f16 v3, v54, v17, -v3
	v_lshlrev_b32_e32 v15, v22, v14
	v_lshl_or_b32 v13, v21, 16, v13
	s_or_b32 vcc_lo, s0, vcc_lo
	v_add_co_ci_u32_e32 v17, vcc_lo, 0, v4, vcc_lo
	v_cvt_f32_f16_e32 v20, v3
	v_cmp_ne_u32_e32 vcc_lo, v15, v18
	v_mul_f64 v[3:4], v[7:8], s[4:5]
	v_add_nc_u32_e32 v18, 0xfffffc10, v23
	v_cvt_f64_f32_e32 v[7:8], v20
	v_cndmask_b32_e64 v15, 0, 1, vcc_lo
	v_cmp_ne_u32_e32 vcc_lo, 0, v5
	v_or_b32_e32 v14, v14, v15
	v_cndmask_b32_e64 v5, 0, 1, vcc_lo
	v_cmp_gt_i32_e32 vcc_lo, 31, v19
	v_lshl_or_b32 v15, v18, 12, v11
	v_lshl_or_b32 v5, v5, 9, 0x7c00
	v_cndmask_b32_e32 v17, 0x7c00, v17, vcc_lo
	v_cmp_gt_i32_e32 vcc_lo, 1, v18
	v_cndmask_b32_e32 v14, v15, v14, vcc_lo
	v_cmp_eq_u32_e32 vcc_lo, 0x40f, v19
	v_and_or_b32 v3, 0x1ff, v4, v3
	v_mul_f64 v[7:8], v[7:8], s[4:5]
	v_and_b32_e32 v19, 7, v14
	v_cndmask_b32_e32 v15, v17, v5, vcc_lo
	v_add_co_u32 v5, vcc_lo, v9, s7
	v_cmp_ne_u32_e64 s1, 0, v3
	v_lshrrev_b32_e32 v17, 16, v6
	v_add_co_ci_u32_e32 v6, vcc_lo, s2, v10, vcc_lo
	v_cmp_lt_i32_e32 vcc_lo, 5, v19
	v_cmp_eq_u32_e64 s0, 3, v19
	v_lshrrev_b32_e32 v9, 2, v14
	v_cndmask_b32_e64 v3, 0, 1, s1
	v_lshrrev_b32_e32 v10, 8, v4
	v_bfe_u32 v14, v4, 20, 11
	s_or_b32 vcc_lo, s0, vcc_lo
	v_and_or_b32 v15, 0x8000, v17, v15
	v_add_co_ci_u32_e32 v9, vcc_lo, 0, v9, vcc_lo
	v_and_or_b32 v3, 0xffe, v10, v3
	v_sub_nc_u32_e32 v10, 0x3f1, v14
	v_cmp_ne_u32_e32 vcc_lo, 0, v11
	v_lshrrev_b32_e32 v17, 16, v16
	v_and_or_b32 v7, 0x1ff, v8, v7
	v_or_b32_e32 v19, 0x1000, v3
	v_med3_i32 v10, v10, 0, 13
	v_cndmask_b32_e64 v11, 0, 1, vcc_lo
	v_cmp_gt_i32_e32 vcc_lo, 31, v18
	v_mul_f16_sdwa v20, v53, v17 dst_sel:DWORD dst_unused:UNUSED_PAD src0_sel:WORD_1 src1_sel:DWORD
	v_bfe_u32 v22, v8, 20, 11
	v_lshrrev_b32_e32 v21, v10, v19
	v_lshl_or_b32 v11, v11, 9, 0x7c00
	v_cndmask_b32_e32 v9, 0x7c00, v9, vcc_lo
	v_cmp_eq_u32_e32 vcc_lo, 0x40f, v18
	v_fmac_f16_e32 v20, v53, v16
	v_lshlrev_b32_e32 v18, v10, v21
	global_store_dword v[5:6], v13, off
	v_mul_f16_sdwa v13, v53, v16 dst_sel:DWORD dst_unused:UNUSED_PAD src0_sel:WORD_1 src1_sel:DWORD
	v_cndmask_b32_e32 v11, v9, v11, vcc_lo
	v_cmp_ne_u32_e32 vcc_lo, 0, v7
	v_cvt_f32_f16_e32 v9, v20
	v_lshrrev_b32_e32 v20, 8, v8
	v_fma_f16 v13, v53, v17, -v13
	v_and_or_b32 v11, 0x8000, v12, v11
	v_cndmask_b32_e64 v7, 0, 1, vcc_lo
	v_cmp_ne_u32_e32 vcc_lo, v18, v19
	v_cvt_f64_f32_e32 v[9:10], v9
	v_add_nc_u32_e32 v19, 0xfffffc10, v14
	v_sub_nc_u32_e32 v14, 0x3f1, v22
	v_and_or_b32 v7, 0xffe, v20, v7
	v_cndmask_b32_e64 v18, 0, 1, vcc_lo
	v_and_b32_e32 v12, 0xffff, v15
	v_lshl_or_b32 v20, v19, 12, v3
	v_med3_i32 v14, v14, 0, 13
	v_cmp_gt_i32_e32 vcc_lo, 1, v19
	v_or_b32_e32 v18, v21, v18
	v_or_b32_e32 v21, 0x1000, v7
	v_lshl_or_b32 v16, v11, 16, v12
	v_cvt_f32_f16_e32 v13, v13
	v_add_nc_u32_e32 v17, 0xfffffc10, v22
	v_cndmask_b32_e32 v15, v20, v18, vcc_lo
	v_lshrrev_b32_e32 v18, v14, v21
	v_add_co_u32 v5, vcc_lo, v5, s6
	v_add_co_ci_u32_e32 v6, vcc_lo, s3, v6, vcc_lo
	v_lshlrev_b32_e32 v12, v14, v18
	v_and_b32_e32 v11, 7, v15
	v_mul_f64 v[9:10], v[9:10], s[4:5]
	v_lshrrev_b32_e32 v24, 16, v8
	global_store_dword v[5:6], v16, off
	v_cmp_ne_u32_e64 s0, v12, v21
	v_cmp_lt_i32_e32 vcc_lo, 5, v11
	v_cndmask_b32_e64 v14, 0, 1, s0
	v_cmp_eq_u32_e64 s0, 3, v11
	v_cvt_f64_f32_e32 v[11:12], v13
	v_lshrrev_b32_e32 v13, 2, v15
	v_lshl_or_b32 v15, v17, 12, v7
	v_or_b32_e32 v14, v18, v14
	s_or_b32 vcc_lo, s0, vcc_lo
	v_add_co_ci_u32_e32 v13, vcc_lo, 0, v13, vcc_lo
	v_cmp_ne_u32_e32 vcc_lo, 0, v3
	v_and_or_b32 v9, 0x1ff, v10, v9
	v_cndmask_b32_e64 v3, 0, 1, vcc_lo
	v_cmp_gt_i32_e32 vcc_lo, 1, v17
	v_lshrrev_b32_e32 v21, 8, v10
	v_bfe_u32 v22, v10, 20, 11
	v_lshrrev_b32_e32 v10, 16, v10
	v_lshl_or_b32 v3, v3, 9, 0x7c00
	v_cndmask_b32_e32 v15, v15, v14, vcc_lo
	v_cmp_gt_i32_e32 vcc_lo, 31, v19
	v_add_nc_u32_e32 v14, 0x1c00, v55
	v_mul_f64 v[11:12], v[11:12], s[4:5]
	v_and_b32_e32 v20, 7, v15
	v_cndmask_b32_e32 v18, 0x7c00, v13, vcc_lo
	v_cmp_ne_u32_e32 vcc_lo, 0, v9
	ds_read2_b32 v[13:14], v14 offset1:112
	v_cmp_eq_u32_e64 s0, 3, v20
	v_cndmask_b32_e64 v9, 0, 1, vcc_lo
	v_cmp_eq_u32_e32 vcc_lo, 0x40f, v19
	v_lshrrev_b32_e32 v19, 16, v4
	v_lshrrev_b32_e32 v4, 2, v15
	v_and_or_b32 v9, 0xffe, v21, v9
	v_cndmask_b32_e32 v18, v18, v3, vcc_lo
	v_cmp_lt_i32_e32 vcc_lo, 5, v20
	v_sub_nc_u32_e32 v3, 0x3f1, v22
	v_add_nc_u32_e32 v22, 0xfffffc10, v22
	v_or_b32_e32 v15, 0x1000, v9
	s_or_b32 vcc_lo, s0, vcc_lo
	v_med3_i32 v3, v3, 0, 13
	v_add_co_ci_u32_e32 v4, vcc_lo, 0, v4, vcc_lo
	v_cmp_ne_u32_e32 vcc_lo, 0, v7
	s_waitcnt lgkmcnt(0)
	v_lshrrev_b32_e32 v20, 16, v13
	v_lshrrev_b32_e32 v21, v3, v15
	v_and_or_b32 v11, 0x1ff, v12, v11
	v_cndmask_b32_e64 v7, 0, 1, vcc_lo
	v_cmp_gt_i32_e32 vcc_lo, 31, v17
	v_lshlrev_b32_e32 v3, v3, v21
	v_mul_f16_sdwa v23, v52, v20 dst_sel:DWORD dst_unused:UNUSED_PAD src0_sel:WORD_1 src1_sel:DWORD
	v_lshl_or_b32 v7, v7, 9, 0x7c00
	v_cndmask_b32_e32 v4, 0x7c00, v4, vcc_lo
	v_cmp_eq_u32_e32 vcc_lo, 0x40f, v17
	v_fmac_f16_e32 v23, v52, v13
	v_mul_f16_sdwa v13, v52, v13 dst_sel:DWORD dst_unused:UNUSED_PAD src0_sel:WORD_1 src1_sel:DWORD
	v_cndmask_b32_e32 v17, v4, v7, vcc_lo
	v_cmp_ne_u32_e32 vcc_lo, v3, v15
	v_lshrrev_b32_e32 v4, 8, v12
	v_bfe_u32 v15, v12, 20, 11
	v_lshrrev_b32_e32 v12, 16, v12
	v_and_or_b32 v16, 0x8000, v24, v17
	v_cndmask_b32_e64 v7, 0, 1, vcc_lo
	v_cmp_ne_u32_e32 vcc_lo, 0, v11
	v_cvt_f32_f16_e32 v11, v23
	v_or_b32_e32 v7, v21, v7
	v_cndmask_b32_e64 v3, 0, 1, vcc_lo
	v_cmp_gt_i32_e32 vcc_lo, 1, v22
	v_and_or_b32 v23, 0xffe, v4, v3
	v_cvt_f64_f32_e32 v[3:4], v11
	v_fma_f16 v11, v52, v20, -v13
	v_lshl_or_b32 v20, v22, 12, v9
	v_sub_nc_u32_e32 v13, 0x3f1, v15
	v_or_b32_e32 v21, 0x1000, v23
	v_add_nc_u32_e32 v15, 0xfffffc10, v15
	v_cvt_f32_f16_e32 v11, v11
	v_cndmask_b32_e32 v20, v20, v7, vcc_lo
	v_med3_i32 v13, v13, 0, 13
	v_cvt_f64_f32_e32 v[7:8], v11
	v_and_or_b32 v11, 0x8000, v19, v18
	v_and_b32_e32 v19, 7, v20
	v_lshrrev_b32_e32 v18, v13, v21
	v_lshrrev_b32_e32 v17, 2, v20
	v_and_b32_e32 v11, 0xffff, v11
	v_cmp_lt_i32_e32 vcc_lo, 5, v19
	v_cmp_eq_u32_e64 s0, 3, v19
	v_lshlrev_b32_e32 v13, v13, v18
	v_mul_f64 v[3:4], v[3:4], s[4:5]
	v_lshl_or_b32 v11, v16, 16, v11
	s_or_b32 vcc_lo, s0, vcc_lo
	v_cmp_ne_u32_e64 s1, v13, v21
	v_add_co_ci_u32_e32 v17, vcc_lo, 0, v17, vcc_lo
	v_cmp_ne_u32_e32 vcc_lo, 0, v9
	v_cndmask_b32_e64 v13, 0, 1, s1
	v_mul_f64 v[7:8], v[7:8], s[4:5]
	v_cndmask_b32_e64 v9, 0, 1, vcc_lo
	v_cmp_gt_i32_e32 vcc_lo, 31, v22
	v_or_b32_e32 v13, v18, v13
	v_lshl_or_b32 v18, v15, 12, v23
	v_lshl_or_b32 v9, v9, 9, 0x7c00
	v_cndmask_b32_e32 v17, 0x7c00, v17, vcc_lo
	v_cmp_gt_i32_e32 vcc_lo, 1, v15
	v_and_or_b32 v3, 0x1ff, v4, v3
	v_cndmask_b32_e32 v13, v18, v13, vcc_lo
	v_cmp_eq_u32_e32 vcc_lo, 0x40f, v22
	v_cmp_ne_u32_e64 s0, 0, v3
	v_and_b32_e32 v16, 7, v13
	v_cndmask_b32_e32 v9, v17, v9, vcc_lo
	v_add_co_u32 v5, vcc_lo, v5, s7
	v_and_or_b32 v7, 0x1ff, v8, v7
	v_cndmask_b32_e64 v3, 0, 1, s0
	v_and_or_b32 v17, 0x8000, v10, v9
	v_lshrrev_b32_e32 v9, 8, v4
	v_bfe_u32 v10, v4, 20, 11
	v_cmp_ne_u32_e64 s1, 0, v7
	v_add_co_ci_u32_e32 v6, vcc_lo, s2, v6, vcc_lo
	v_cmp_lt_i32_e32 vcc_lo, 5, v16
	v_cmp_eq_u32_e64 s0, 3, v16
	v_lshrrev_b32_e32 v13, 2, v13
	v_and_or_b32 v3, 0xffe, v9, v3
	v_sub_nc_u32_e32 v9, 0x3f1, v10
	v_cndmask_b32_e64 v7, 0, 1, s1
	v_lshrrev_b32_e32 v16, 8, v8
	v_bfe_u32 v18, v8, 20, 11
	s_or_b32 vcc_lo, s0, vcc_lo
	v_or_b32_e32 v19, 0x1000, v3
	v_add_co_ci_u32_e32 v13, vcc_lo, 0, v13, vcc_lo
	v_med3_i32 v9, v9, 0, 13
	v_and_or_b32 v7, 0xffe, v16, v7
	v_sub_nc_u32_e32 v16, 0x3f1, v18
	v_cmp_ne_u32_e32 vcc_lo, 0, v23
	v_lshrrev_b32_e32 v23, 16, v0
	v_lshrrev_b32_e32 v21, v9, v19
	v_or_b32_e32 v22, 0x1000, v7
	v_med3_i32 v16, v16, 0, 13
	v_cndmask_b32_e64 v20, 0, 1, vcc_lo
	v_cmp_gt_i32_e32 vcc_lo, 31, v15
	v_lshlrev_b32_e32 v9, v9, v21
	v_mul_f16_sdwa v24, v51, v23 dst_sel:DWORD dst_unused:UNUSED_PAD src0_sel:WORD_1 src1_sel:DWORD
	v_lshrrev_b32_e32 v25, v16, v22
	v_lshl_or_b32 v20, v20, 9, 0x7c00
	v_cndmask_b32_e32 v13, 0x7c00, v13, vcc_lo
	v_cmp_eq_u32_e32 vcc_lo, 0x40f, v15
	v_fmac_f16_e32 v24, v51, v0
	v_lshlrev_b32_e32 v15, v16, v25
	v_add_nc_u32_e32 v18, 0xfffffc10, v18
	v_mul_f16_sdwa v0, v51, v0 dst_sel:DWORD dst_unused:UNUSED_PAD src0_sel:WORD_1 src1_sel:DWORD
	v_cndmask_b32_e32 v13, v13, v20, vcc_lo
	v_cmp_ne_u32_e32 vcc_lo, v9, v19
	v_add_nc_u32_e32 v19, 0xfffffc10, v10
	v_cvt_f32_f16_e32 v9, v24
	v_fma_f16 v0, v51, v23, -v0
	v_and_or_b32 v12, 0x8000, v12, v13
	v_cndmask_b32_e64 v16, 0, 1, vcc_lo
	v_cmp_ne_u32_e32 vcc_lo, v15, v22
	v_lshl_or_b32 v20, v19, 12, v3
	v_cvt_f64_f32_e32 v[9:10], v9
	v_and_b32_e32 v17, 0xffff, v17
	v_or_b32_e32 v16, v21, v16
	v_cndmask_b32_e64 v15, 0, 1, vcc_lo
	v_cmp_gt_i32_e32 vcc_lo, 1, v19
	global_store_dword v[5:6], v11, off
	v_cvt_f32_f16_e32 v0, v0
	v_lshl_or_b32 v17, v12, 16, v17
	v_or_b32_e32 v13, v25, v15
	v_lshl_or_b32 v15, v18, 12, v7
	v_cndmask_b32_e32 v16, v20, v16, vcc_lo
	v_cmp_gt_i32_e32 vcc_lo, 1, v18
	v_cndmask_b32_e32 v13, v15, v13, vcc_lo
	v_and_b32_e32 v15, 7, v16
	v_and_b32_e32 v11, 7, v13
	v_cmp_lt_i32_e32 vcc_lo, 5, v15
	v_cmp_eq_u32_e64 s0, 3, v15
	v_lshrrev_b32_e32 v15, 2, v16
	v_lshrrev_b32_e32 v13, 2, v13
	v_cmp_lt_i32_e64 s1, 5, v11
	v_cmp_eq_u32_e64 s2, 3, v11
	s_or_b32 vcc_lo, s0, vcc_lo
	v_cvt_f64_f32_e32 v[11:12], v0
	v_add_co_ci_u32_e32 v0, vcc_lo, 0, v15, vcc_lo
	v_cmp_ne_u32_e32 vcc_lo, 0, v3
	v_mul_f64 v[9:10], v[9:10], s[4:5]
	v_lshrrev_b32_e32 v15, 16, v4
	v_lshrrev_b32_e32 v16, 16, v8
	v_cndmask_b32_e64 v3, 0, 1, vcc_lo
	s_or_b32 vcc_lo, s2, s1
	v_add_co_ci_u32_e32 v13, vcc_lo, 0, v13, vcc_lo
	v_cmp_ne_u32_e32 vcc_lo, 0, v7
	v_lshl_or_b32 v3, v3, 9, 0x7c00
	v_cndmask_b32_e64 v7, 0, 1, vcc_lo
	v_cmp_gt_i32_e32 vcc_lo, 31, v19
	v_lshl_or_b32 v7, v7, 9, 0x7c00
	v_cndmask_b32_e32 v0, 0x7c00, v0, vcc_lo
	v_cmp_gt_i32_e32 vcc_lo, 31, v18
	v_and_or_b32 v9, 0x1ff, v10, v9
	v_cndmask_b32_e32 v13, 0x7c00, v13, vcc_lo
	v_cmp_eq_u32_e32 vcc_lo, 0x40f, v19
	v_cndmask_b32_e32 v0, v0, v3, vcc_lo
	v_cmp_eq_u32_e32 vcc_lo, 0x40f, v18
	v_mul_f64 v[3:4], v[11:12], s[4:5]
	v_lshrrev_b32_e32 v11, 8, v10
	v_bfe_u32 v12, v10, 20, 11
	v_and_or_b32 v15, 0x8000, v15, v0
	v_cndmask_b32_e32 v13, v13, v7, vcc_lo
	v_cmp_ne_u32_e32 vcc_lo, 0, v9
	v_mad_u64_u32 v[7:8], null, s8, v49, 0
	v_and_b32_e32 v15, 0xffff, v15
	v_and_or_b32 v13, 0x8000, v16, v13
	v_cndmask_b32_e64 v9, 0, 1, vcc_lo
	v_lshrrev_b32_e32 v16, 16, v14
	v_add_co_u32 v5, vcc_lo, v5, s6
	v_mov_b32_e32 v0, v8
	v_and_or_b32 v18, 0xffe, v11, v9
	v_sub_nc_u32_e32 v9, 0x3f1, v12
	v_mul_f16_sdwa v21, v50, v16 dst_sel:DWORD dst_unused:UNUSED_PAD src0_sel:WORD_1 src1_sel:DWORD
	v_add_co_ci_u32_e32 v6, vcc_lo, s3, v6, vcc_lo
	v_or_b32_e32 v11, 0x1000, v18
	v_med3_i32 v19, v9, 0, 13
	v_and_or_b32 v3, 0x1ff, v4, v3
	v_mad_u64_u32 v[8:9], null, s9, v49, v[0:1]
	v_fmac_f16_e32 v21, v50, v14
	v_lshrrev_b32_e32 v20, v19, v11
	v_cmp_ne_u32_e32 vcc_lo, 0, v3
	v_mul_f16_sdwa v14, v50, v14 dst_sel:DWORD dst_unused:UNUSED_PAD src0_sel:WORD_1 src1_sel:DWORD
	v_lshrrev_b32_e32 v9, 8, v4
	v_lshl_or_b32 v15, v13, 16, v15
	v_lshlrev_b32_e32 v0, v19, v20
	v_cndmask_b32_e64 v3, 0, 1, vcc_lo
	v_bfe_u32 v19, v4, 20, 11
	v_fma_f16 v14, v50, v16, -v14
	v_lshlrev_b64 v[7:8], 2, v[7:8]
	v_cmp_ne_u32_e32 vcc_lo, v0, v11
	v_cvt_f32_f16_e32 v11, v21
	v_add_nc_u32_e32 v21, 0xfffffc10, v12
	v_and_or_b32 v3, 0xffe, v9, v3
	v_sub_nc_u32_e32 v9, 0x3f1, v19
	v_cndmask_b32_e64 v0, 0, 1, vcc_lo
	v_cvt_f64_f32_e32 v[11:12], v11
	v_cmp_gt_i32_e32 vcc_lo, 1, v21
	v_cvt_f32_f16_e32 v14, v14
	v_or_b32_e32 v22, 0x1000, v3
	v_or_b32_e32 v0, v20, v0
	v_lshl_or_b32 v20, v21, 12, v18
	v_med3_i32 v9, v9, 0, 13
	v_cvt_f64_f32_e32 v[13:14], v14
	v_add_nc_u32_e32 v19, 0xfffffc10, v19
	v_lshrrev_b32_e32 v4, 16, v4
	v_cndmask_b32_e32 v0, v20, v0, vcc_lo
	v_lshrrev_b32_e32 v16, v9, v22
	v_and_b32_e32 v20, 7, v0
	v_lshrrev_b32_e32 v0, 2, v0
	v_lshlrev_b32_e32 v9, v9, v16
	v_cmp_lt_i32_e32 vcc_lo, 5, v20
	v_cmp_eq_u32_e64 s0, 3, v20
	v_mul_f64 v[11:12], v[11:12], s[4:5]
	v_cmp_ne_u32_e64 s1, v9, v22
	s_or_b32 vcc_lo, s0, vcc_lo
	v_add_co_ci_u32_e32 v0, vcc_lo, 0, v0, vcc_lo
	v_cmp_ne_u32_e32 vcc_lo, 0, v18
	v_cndmask_b32_e64 v9, 0, 1, s1
	v_mul_f64 v[13:14], v[13:14], s[4:5]
	v_cndmask_b32_e64 v18, 0, 1, vcc_lo
	v_cmp_gt_i32_e32 vcc_lo, 31, v21
	v_or_b32_e32 v9, v16, v9
	v_lshl_or_b32 v16, v19, 12, v3
	v_lshl_or_b32 v18, v18, 9, 0x7c00
	v_cndmask_b32_e32 v0, 0x7c00, v0, vcc_lo
	v_cmp_gt_i32_e32 vcc_lo, 1, v19
	v_and_or_b32 v11, 0x1ff, v12, v11
	v_cndmask_b32_e32 v9, v16, v9, vcc_lo
	v_add_co_u32 v7, vcc_lo, v1, v7
	v_add_co_ci_u32_e32 v8, vcc_lo, v2, v8, vcc_lo
	v_and_b32_e32 v16, 7, v9
	v_cmp_eq_u32_e32 vcc_lo, 0x40f, v21
	v_cmp_ne_u32_e64 s1, 0, v11
	v_lshrrev_b32_e32 v9, 2, v9
	v_lshrrev_b32_e32 v11, 8, v12
	v_cmp_eq_u32_e64 s0, 3, v16
	v_cndmask_b32_e32 v0, v0, v18, vcc_lo
	v_cmp_lt_i32_e32 vcc_lo, 5, v16
	v_lshrrev_b32_e32 v18, 16, v10
	v_cndmask_b32_e64 v10, 0, 1, s1
	v_bfe_u32 v16, v12, 20, 11
	v_and_or_b32 v13, 0x1ff, v14, v13
	s_or_b32 vcc_lo, s0, vcc_lo
	v_lshrrev_b32_e32 v21, 8, v14
	v_add_co_ci_u32_e32 v9, vcc_lo, 0, v9, vcc_lo
	v_and_or_b32 v11, 0xffe, v11, v10
	v_sub_nc_u32_e32 v10, 0x3f1, v16
	v_cmp_ne_u32_e32 vcc_lo, 0, v3
	v_bfe_u32 v22, v14, 20, 11
	v_add_nc_u32_e32 v16, 0xfffffc10, v16
	v_or_b32_e32 v20, 0x1000, v11
	v_med3_i32 v10, v10, 0, 13
	v_cndmask_b32_e64 v3, 0, 1, vcc_lo
	v_cmp_ne_u32_e32 vcc_lo, 0, v13
	v_and_or_b32 v18, 0x8000, v18, v0
	v_cmp_gt_i32_e64 s1, 31, v16
	v_lshrrev_b32_e32 v23, v10, v20
	v_lshl_or_b32 v3, v3, 9, 0x7c00
	v_cndmask_b32_e64 v13, 0, 1, vcc_lo
	v_cmp_gt_i32_e32 vcc_lo, 31, v19
	v_lshrrev_b32_e32 v12, 16, v12
	v_and_b32_e32 v18, 0xffff, v18
	v_and_or_b32 v13, 0xffe, v21, v13
	v_cndmask_b32_e32 v9, 0x7c00, v9, vcc_lo
	v_sub_nc_u32_e32 v21, 0x3f1, v22
	v_cmp_eq_u32_e32 vcc_lo, 0x40f, v19
	v_lshlrev_b32_e32 v19, v10, v23
	v_or_b32_e32 v24, 0x1000, v13
	v_med3_i32 v21, v21, 0, 13
	v_cndmask_b32_e32 v3, v9, v3, vcc_lo
	v_cmp_ne_u32_e32 vcc_lo, v19, v20
	v_mad_u64_u32 v[9:10], null, s8, v48, 0
	v_lshrrev_b32_e32 v20, v21, v24
	v_and_or_b32 v25, 0x8000, v4, v3
	v_cndmask_b32_e64 v19, 0, 1, vcc_lo
	v_cmp_gt_i32_e32 vcc_lo, 1, v16
	v_lshlrev_b32_e32 v21, v21, v20
	v_mov_b32_e32 v0, v10
	v_or_b32_e32 v19, v23, v19
	v_lshl_or_b32 v23, v16, 12, v11
	v_lshl_or_b32 v18, v25, 16, v18
	v_mad_u64_u32 v[3:4], null, s9, v48, v[0:1]
	v_cndmask_b32_e32 v19, v23, v19, vcc_lo
	v_cmp_ne_u32_e32 vcc_lo, v21, v24
	v_add_nc_u32_e32 v21, 0xfffffc10, v22
	v_and_b32_e32 v0, 7, v19
	v_cndmask_b32_e64 v10, 0, 1, vcc_lo
	v_cmp_gt_i32_e64 s0, 1, v21
	v_cmp_lt_i32_e32 vcc_lo, 5, v0
	v_or_b32_e32 v4, v20, v10
	v_lshl_or_b32 v10, v21, 12, v13
	v_cndmask_b32_e64 v4, v10, v4, s0
	v_cmp_eq_u32_e64 s0, 3, v0
	v_lshrrev_b32_e32 v0, 2, v19
	v_mov_b32_e32 v10, v3
	v_and_b32_e32 v3, 7, v4
	s_or_b32 vcc_lo, s0, vcc_lo
	v_add_co_ci_u32_e32 v0, vcc_lo, 0, v0, vcc_lo
	v_cmp_ne_u32_e32 vcc_lo, 0, v11
	v_cmp_eq_u32_e64 s0, 3, v3
	v_lshlrev_b64 v[9:10], 2, v[9:10]
	v_cndmask_b32_e64 v0, 0x7c00, v0, s1
	v_cndmask_b32_e64 v11, 0, 1, vcc_lo
	v_cmp_lt_i32_e32 vcc_lo, 5, v3
	v_lshrrev_b32_e32 v3, 2, v4
	v_lshl_or_b32 v11, v11, 9, 0x7c00
	s_or_b32 vcc_lo, s0, vcc_lo
	v_add_co_ci_u32_e32 v19, vcc_lo, 0, v3, vcc_lo
	v_cmp_ne_u32_e32 vcc_lo, 0, v13
	v_mad_u64_u32 v[3:4], null, 0x1180, s8, v[5:6]
	v_cndmask_b32_e64 v13, 0, 1, vcc_lo
	v_cmp_gt_i32_e32 vcc_lo, 31, v21
	v_lshl_or_b32 v13, v13, 9, 0x7c00
	v_cndmask_b32_e32 v19, 0x7c00, v19, vcc_lo
	v_cmp_eq_u32_e32 vcc_lo, 0x40f, v16
	v_cndmask_b32_e32 v11, v0, v11, vcc_lo
	v_cmp_eq_u32_e32 vcc_lo, 0x40f, v21
	v_mov_b32_e32 v0, v4
	v_lshrrev_b32_e32 v4, 16, v14
	v_and_or_b32 v14, 0x8000, v12, v11
	v_cndmask_b32_e32 v13, v19, v13, vcc_lo
	v_mad_u64_u32 v[11:12], null, 0x1180, s9, v[0:1]
	v_add_co_u32 v0, vcc_lo, v1, v9
	v_and_or_b32 v4, 0x8000, v4, v13
	v_and_b32_e32 v12, 0xffff, v14
	v_add_co_ci_u32_e32 v1, vcc_lo, v2, v10, vcc_lo
	v_lshl_or_b32 v2, v4, 16, v12
	v_mov_b32_e32 v4, v11
	global_store_dword v[5:6], v17, off
	global_store_dword v[7:8], v15, off
	;; [unrolled: 1-line block ×4, first 2 shown]
.LBB0_10:
	s_endpgm
	.section	.rodata,"a",@progbits
	.p2align	6, 0x0
	.amdhsa_kernel bluestein_single_back_len2016_dim1_half_op_CI_CI
		.amdhsa_group_segment_fixed_size 16128
		.amdhsa_private_segment_fixed_size 0
		.amdhsa_kernarg_size 104
		.amdhsa_user_sgpr_count 6
		.amdhsa_user_sgpr_private_segment_buffer 1
		.amdhsa_user_sgpr_dispatch_ptr 0
		.amdhsa_user_sgpr_queue_ptr 0
		.amdhsa_user_sgpr_kernarg_segment_ptr 1
		.amdhsa_user_sgpr_dispatch_id 0
		.amdhsa_user_sgpr_flat_scratch_init 0
		.amdhsa_user_sgpr_private_segment_size 0
		.amdhsa_wavefront_size32 1
		.amdhsa_uses_dynamic_stack 0
		.amdhsa_system_sgpr_private_segment_wavefront_offset 0
		.amdhsa_system_sgpr_workgroup_id_x 1
		.amdhsa_system_sgpr_workgroup_id_y 0
		.amdhsa_system_sgpr_workgroup_id_z 0
		.amdhsa_system_sgpr_workgroup_info 0
		.amdhsa_system_vgpr_workitem_id 0
		.amdhsa_next_free_vgpr 209
		.amdhsa_next_free_sgpr 20
		.amdhsa_reserve_vcc 1
		.amdhsa_reserve_flat_scratch 0
		.amdhsa_float_round_mode_32 0
		.amdhsa_float_round_mode_16_64 0
		.amdhsa_float_denorm_mode_32 3
		.amdhsa_float_denorm_mode_16_64 3
		.amdhsa_dx10_clamp 1
		.amdhsa_ieee_mode 1
		.amdhsa_fp16_overflow 0
		.amdhsa_workgroup_processor_mode 1
		.amdhsa_memory_ordered 1
		.amdhsa_forward_progress 0
		.amdhsa_shared_vgpr_count 0
		.amdhsa_exception_fp_ieee_invalid_op 0
		.amdhsa_exception_fp_denorm_src 0
		.amdhsa_exception_fp_ieee_div_zero 0
		.amdhsa_exception_fp_ieee_overflow 0
		.amdhsa_exception_fp_ieee_underflow 0
		.amdhsa_exception_fp_ieee_inexact 0
		.amdhsa_exception_int_div_zero 0
	.end_amdhsa_kernel
	.text
.Lfunc_end0:
	.size	bluestein_single_back_len2016_dim1_half_op_CI_CI, .Lfunc_end0-bluestein_single_back_len2016_dim1_half_op_CI_CI
                                        ; -- End function
	.section	.AMDGPU.csdata,"",@progbits
; Kernel info:
; codeLenInByte = 32588
; NumSgprs: 22
; NumVgprs: 209
; ScratchSize: 0
; MemoryBound: 0
; FloatMode: 240
; IeeeMode: 1
; LDSByteSize: 16128 bytes/workgroup (compile time only)
; SGPRBlocks: 2
; VGPRBlocks: 26
; NumSGPRsForWavesPerEU: 22
; NumVGPRsForWavesPerEU: 209
; Occupancy: 4
; WaveLimiterHint : 1
; COMPUTE_PGM_RSRC2:SCRATCH_EN: 0
; COMPUTE_PGM_RSRC2:USER_SGPR: 6
; COMPUTE_PGM_RSRC2:TRAP_HANDLER: 0
; COMPUTE_PGM_RSRC2:TGID_X_EN: 1
; COMPUTE_PGM_RSRC2:TGID_Y_EN: 0
; COMPUTE_PGM_RSRC2:TGID_Z_EN: 0
; COMPUTE_PGM_RSRC2:TIDIG_COMP_CNT: 0
	.text
	.p2alignl 6, 3214868480
	.fill 48, 4, 3214868480
	.type	__hip_cuid_98988ec4b7bec1ea,@object ; @__hip_cuid_98988ec4b7bec1ea
	.section	.bss,"aw",@nobits
	.globl	__hip_cuid_98988ec4b7bec1ea
__hip_cuid_98988ec4b7bec1ea:
	.byte	0                               ; 0x0
	.size	__hip_cuid_98988ec4b7bec1ea, 1

	.ident	"AMD clang version 19.0.0git (https://github.com/RadeonOpenCompute/llvm-project roc-6.4.0 25133 c7fe45cf4b819c5991fe208aaa96edf142730f1d)"
	.section	".note.GNU-stack","",@progbits
	.addrsig
	.addrsig_sym __hip_cuid_98988ec4b7bec1ea
	.amdgpu_metadata
---
amdhsa.kernels:
  - .args:
      - .actual_access:  read_only
        .address_space:  global
        .offset:         0
        .size:           8
        .value_kind:     global_buffer
      - .actual_access:  read_only
        .address_space:  global
        .offset:         8
        .size:           8
        .value_kind:     global_buffer
      - .actual_access:  read_only
        .address_space:  global
        .offset:         16
        .size:           8
        .value_kind:     global_buffer
      - .actual_access:  read_only
        .address_space:  global
        .offset:         24
        .size:           8
        .value_kind:     global_buffer
      - .actual_access:  read_only
        .address_space:  global
        .offset:         32
        .size:           8
        .value_kind:     global_buffer
      - .offset:         40
        .size:           8
        .value_kind:     by_value
      - .address_space:  global
        .offset:         48
        .size:           8
        .value_kind:     global_buffer
      - .address_space:  global
        .offset:         56
        .size:           8
        .value_kind:     global_buffer
      - .address_space:  global
        .offset:         64
        .size:           8
        .value_kind:     global_buffer
      - .address_space:  global
        .offset:         72
        .size:           8
        .value_kind:     global_buffer
      - .offset:         80
        .size:           4
        .value_kind:     by_value
      - .address_space:  global
        .offset:         88
        .size:           8
        .value_kind:     global_buffer
      - .address_space:  global
        .offset:         96
        .size:           8
        .value_kind:     global_buffer
    .group_segment_fixed_size: 16128
    .kernarg_segment_align: 8
    .kernarg_segment_size: 104
    .language:       OpenCL C
    .language_version:
      - 2
      - 0
    .max_flat_workgroup_size: 224
    .name:           bluestein_single_back_len2016_dim1_half_op_CI_CI
    .private_segment_fixed_size: 0
    .sgpr_count:     22
    .sgpr_spill_count: 0
    .symbol:         bluestein_single_back_len2016_dim1_half_op_CI_CI.kd
    .uniform_work_group_size: 1
    .uses_dynamic_stack: false
    .vgpr_count:     209
    .vgpr_spill_count: 0
    .wavefront_size: 32
    .workgroup_processor_mode: 1
amdhsa.target:   amdgcn-amd-amdhsa--gfx1030
amdhsa.version:
  - 1
  - 2
...

	.end_amdgpu_metadata
